;; amdgpu-corpus repo=ROCm/rocFFT kind=compiled arch=gfx950 opt=O3
	.text
	.amdgcn_target "amdgcn-amd-amdhsa--gfx950"
	.amdhsa_code_object_version 6
	.protected	bluestein_single_fwd_len1815_dim1_sp_op_CI_CI ; -- Begin function bluestein_single_fwd_len1815_dim1_sp_op_CI_CI
	.globl	bluestein_single_fwd_len1815_dim1_sp_op_CI_CI
	.p2align	8
	.type	bluestein_single_fwd_len1815_dim1_sp_op_CI_CI,@function
bluestein_single_fwd_len1815_dim1_sp_op_CI_CI: ; @bluestein_single_fwd_len1815_dim1_sp_op_CI_CI
; %bb.0:
	s_load_dwordx4 s[12:15], s[0:1], 0x28
	v_mul_u32_u24_e32 v1, 0x18e, v0
	v_mov_b32_e32 v75, 0
	v_add_u32_sdwa v82, s2, v1 dst_sel:DWORD dst_unused:UNUSED_PAD src0_sel:DWORD src1_sel:WORD_1
	v_mov_b32_e32 v83, v75
	s_waitcnt lgkmcnt(0)
	v_cmp_gt_u64_e32 vcc, s[12:13], v[82:83]
	s_and_saveexec_b64 s[2:3], vcc
	s_cbranch_execz .LBB0_18
; %bb.1:
	s_load_dwordx4 s[4:7], s[0:1], 0x18
	s_load_dwordx4 s[8:11], s[0:1], 0x0
	v_mov_b32_e32 v2, s14
	v_mov_b32_e32 v3, s15
	s_movk_i32 s2, 0xa5
	s_waitcnt lgkmcnt(0)
	s_load_dwordx4 s[12:15], s[4:5], 0x0
	v_mul_lo_u16_sdwa v1, v1, s2 dst_sel:DWORD dst_unused:UNUSED_PAD src0_sel:WORD_1 src1_sel:DWORD
	v_sub_u16_e32 v74, v0, v1
	v_mov_b32_e32 v26, 0x528
	v_lshlrev_b32_e32 v72, 3, v74
	s_waitcnt lgkmcnt(0)
	v_mad_u64_u32 v[0:1], s[2:3], s14, v82, 0
	v_mov_b32_e32 v4, v1
	v_mad_u64_u32 v[4:5], s[2:3], s15, v82, v[4:5]
	v_mov_b32_e32 v1, v4
	v_mad_u64_u32 v[4:5], s[2:3], s12, v74, 0
	v_mov_b32_e32 v6, v5
	v_mad_u64_u32 v[6:7], s[2:3], s13, v74, v[6:7]
	v_mov_b32_e32 v5, v6
	v_lshl_add_u64 v[0:1], v[0:1], 3, v[2:3]
	v_lshl_add_u64 v[0:1], v[4:5], 3, v[0:1]
	global_load_dwordx2 v[2:3], v[0:1], off
	v_mad_u64_u32 v[0:1], s[2:3], s12, v26, v[0:1]
	s_mul_i32 s4, s13, 0x528
	v_add_u32_e32 v1, s4, v1
	v_mad_u64_u32 v[6:7], s[2:3], s12, v26, v[0:1]
	v_add_u32_e32 v7, s4, v7
	v_mad_u64_u32 v[8:9], s[2:3], s12, v26, v[6:7]
	v_add_u32_e32 v9, s4, v9
	v_mov_b32_e32 v73, v75
	v_mad_u64_u32 v[10:11], s[2:3], s12, v26, v[8:9]
	v_lshl_add_u64 v[4:5], s[8:9], 0, v[72:73]
	v_add_u32_e32 v11, s4, v11
	s_movk_i32 s2, 0x1000
	global_load_dwordx2 v[98:99], v72, s[8:9]
	global_load_dwordx2 v[96:97], v72, s[8:9] offset:1320
	global_load_dwordx2 v[92:93], v72, s[8:9] offset:2640
	;; [unrolled: 1-line block ×3, first 2 shown]
	global_load_dwordx2 v[12:13], v[0:1], off
	global_load_dwordx2 v[14:15], v[6:7], off
	;; [unrolled: 1-line block ×4, first 2 shown]
	v_add_co_u32_e32 v0, vcc, s2, v4
	v_mad_u64_u32 v[6:7], s[2:3], s12, v26, v[10:11]
	v_add_u32_e32 v7, s4, v7
	v_addc_co_u32_e32 v1, vcc, 0, v5, vcc
	global_load_dwordx2 v[8:9], v[6:7], off
	global_load_dwordx2 v[94:95], v[0:1], off offset:1184
	global_load_dwordx2 v[86:87], v[0:1], off offset:2504
	v_mad_u64_u32 v[6:7], s[2:3], s12, v26, v[6:7]
	v_add_u32_e32 v7, s4, v7
	global_load_dwordx2 v[10:11], v[6:7], off
	v_mad_u64_u32 v[6:7], s[2:3], s12, v26, v[6:7]
	s_movk_i32 s2, 0x2000
	v_add_u32_e32 v7, s4, v7
	v_add_co_u32_e32 v22, vcc, s2, v4
	global_load_dwordx2 v[20:21], v[6:7], off
	s_nop 0
	v_addc_co_u32_e32 v23, vcc, 0, v5, vcc
	global_load_dwordx2 v[90:91], v[0:1], off offset:3824
	global_load_dwordx2 v[80:81], v[22:23], off offset:1048
	v_mad_u64_u32 v[0:1], s[2:3], s12, v26, v[6:7]
	v_add_u32_e32 v1, s4, v1
	global_load_dwordx2 v[6:7], v[0:1], off
	v_mad_u64_u32 v[0:1], s[2:3], s12, v26, v[0:1]
	v_add_u32_e32 v1, s4, v1
	global_load_dwordx2 v[24:25], v[0:1], off
	global_load_dwordx2 v[84:85], v[22:23], off offset:2368
	global_load_dwordx2 v[78:79], v[22:23], off offset:3688
	v_mad_u64_u32 v[0:1], s[2:3], s12, v26, v[0:1]
	s_movk_i32 s2, 0x3000
	s_nop 0
	v_add_co_u32_e32 v4, vcc, s2, v4
	v_add_u32_e32 v1, s4, v1
	s_nop 0
	v_addc_co_u32_e32 v5, vcc, 0, v5, vcc
	global_load_dwordx2 v[76:77], v[4:5], off offset:912
	global_load_dwordx2 v[22:23], v[0:1], off
	v_add_u32_e32 v4, 0x800, v72
	v_add_u32_e32 v5, 0x1400, v72
	s_load_dwordx4 s[4:7], s[6:7], 0x0
	s_mov_b32 s22, 0xbf0a6770
	s_mov_b32 s12, 0x3f575c64
	s_mov_b32 s28, 0xbf68dda4
	s_mov_b32 s2, 0x3ed4b147
	s_mov_b32 s16, 0xbf7d64f0
	s_mov_b32 s14, 0xbe11bafb
	s_mov_b32 s20, 0xbf4178ce
	s_mov_b32 s18, 0xbf27a4f4
	s_mov_b32 s26, 0xbe903f40
	s_mov_b32 s24, 0xbf75a155
	s_mov_b32 s30, 0x3f7d64f0
	s_mov_b32 s34, 0x3f0a6770
	s_waitcnt vmcnt(20)
	v_mul_f32_e32 v0, v3, v99
	v_mul_f32_e32 v1, v2, v99
	v_fmac_f32_e32 v0, v2, v98
	v_fma_f32 v1, v3, v98, -v1
	s_waitcnt vmcnt(16)
	v_mul_f32_e32 v2, v13, v97
	v_mul_f32_e32 v3, v12, v97
	v_fmac_f32_e32 v2, v12, v96
	v_fma_f32 v3, v13, v96, -v3
	ds_write2_b64 v72, v[0:1], v[2:3] offset1:165
	s_waitcnt vmcnt(15)
	v_mul_f32_e32 v0, v15, v93
	v_mul_f32_e32 v1, v14, v93
	s_waitcnt vmcnt(14)
	v_mul_f32_e32 v2, v17, v89
	v_mul_f32_e32 v3, v16, v89
	v_fmac_f32_e32 v0, v14, v92
	v_fma_f32 v1, v15, v92, -v1
	v_fmac_f32_e32 v2, v16, v88
	v_fma_f32 v3, v17, v88, -v3
	ds_write2_b64 v4, v[0:1], v[2:3] offset0:74 offset1:239
	s_waitcnt vmcnt(11)
	v_mul_f32_e32 v0, v19, v95
	v_mul_f32_e32 v1, v18, v95
	s_waitcnt vmcnt(10)
	v_mul_f32_e32 v2, v9, v87
	v_mul_f32_e32 v3, v8, v87
	v_fmac_f32_e32 v0, v18, v94
	v_fma_f32 v1, v19, v94, -v1
	v_fmac_f32_e32 v2, v8, v86
	v_fma_f32 v3, v9, v86, -v3
	ds_write2_b64 v5, v[0:1], v[2:3] offset0:20 offset1:185
	s_waitcnt vmcnt(7)
	v_mul_f32_e32 v0, v11, v91
	v_mul_f32_e32 v1, v10, v91
	s_waitcnt vmcnt(6)
	v_mul_f32_e32 v2, v21, v81
	v_mul_f32_e32 v3, v20, v81
	v_fmac_f32_e32 v0, v10, v90
	v_fma_f32 v1, v11, v90, -v1
	v_fmac_f32_e32 v2, v20, v80
	v_fma_f32 v3, v21, v80, -v3
	v_add_u32_e32 v12, 0x1e00, v72
	ds_write2_b64 v12, v[0:1], v[2:3] offset0:30 offset1:195
	s_waitcnt vmcnt(3)
	v_mul_f32_e32 v0, v7, v85
	v_mul_f32_e32 v1, v6, v85
	s_waitcnt vmcnt(2)
	v_mul_f32_e32 v2, v25, v79
	v_mul_f32_e32 v3, v24, v79
	v_fmac_f32_e32 v0, v6, v84
	v_fma_f32 v1, v7, v84, -v1
	v_fmac_f32_e32 v2, v24, v78
	v_fma_f32 v3, v25, v78, -v3
	v_add_u32_e32 v6, 0x2800, v72
	ds_write2_b64 v6, v[0:1], v[2:3] offset0:40 offset1:205
	s_waitcnt vmcnt(0)
	v_mul_f32_e32 v0, v23, v77
	v_mul_f32_e32 v1, v22, v77
	v_fmac_f32_e32 v0, v22, v76
	v_fma_f32 v1, v23, v76, -v1
	ds_write_b64 v72, v[0:1] offset:13200
	s_waitcnt lgkmcnt(0)
	s_barrier
	ds_read2_b64 v[0:3], v72 offset1:165
	ds_read2_b64 v[8:11], v5 offset0:20 offset1:185
	ds_read_b64 v[24:25], v72 offset:13200
	ds_read2_b64 v[12:15], v12 offset0:30 offset1:195
	ds_read2_b64 v[16:19], v4 offset0:74 offset1:239
	ds_read2_b64 v[20:23], v6 offset0:40 offset1:205
	s_waitcnt lgkmcnt(5)
	v_pk_add_f32 v[30:31], v[0:1], v[2:3]
	s_waitcnt lgkmcnt(3)
	v_pk_add_f32 v[4:5], v[24:25], v[2:3]
	;; [unrolled: 2-line block ×4, first 2 shown]
	v_pk_add_f32 v[26:27], v[8:9], v[14:15] neg_lo:[0,1] neg_hi:[0,1]
	v_pk_add_f32 v[30:31], v[30:31], v[18:19]
	v_pk_add_f32 v[28:29], v[12:13], v[10:11]
	;; [unrolled: 1-line block ×3, first 2 shown]
	s_waitcnt lgkmcnt(0)
	v_pk_add_f32 v[30:31], v[22:23], v[16:17]
	v_pk_add_f32 v[8:9], v[8:9], v[10:11]
	v_pk_add_f32 v[10:11], v[10:11], v[12:13] neg_lo:[0,1] neg_hi:[0,1]
	v_pk_add_f32 v[8:9], v[8:9], v[12:13]
	v_pk_add_f32 v[12:13], v[16:17], v[22:23] neg_lo:[0,1] neg_hi:[0,1]
	v_pk_add_f32 v[8:9], v[8:9], v[14:15]
	v_pk_add_f32 v[14:15], v[20:21], v[18:19]
	v_pk_add_f32 v[16:17], v[18:19], v[20:21] neg_lo:[0,1] neg_hi:[0,1]
	v_pk_add_f32 v[18:19], v[2:3], v[24:25] neg_lo:[0,1] neg_hi:[0,1]
	v_pk_add_f32 v[2:3], v[8:9], v[20:21]
	v_pk_mul_f32 v[20:21], v[18:19], s[22:23] op_sel_hi:[1,0]
	v_pk_add_f32 v[8:9], v[2:3], v[22:23]
	v_pk_fma_f32 v[2:3], v[4:5], s[12:13], v[20:21] op_sel:[0,0,1] op_sel_hi:[1,0,0]
	v_pk_fma_f32 v[20:21], v[4:5], s[12:13], v[20:21] op_sel:[0,0,1] op_sel_hi:[1,0,0] neg_lo:[0,0,1] neg_hi:[0,0,1]
	v_pk_add_f32 v[22:23], v[8:9], v[24:25]
	v_pk_mul_f32 v[24:25], v[12:13], s[28:29] op_sel_hi:[1,0]
	v_mov_b32_e32 v33, v21
	v_pk_fma_f32 v[8:9], v[30:31], s[2:3], v[24:25] op_sel:[0,0,1] op_sel_hi:[1,0,0]
	v_pk_fma_f32 v[24:25], v[30:31], s[2:3], v[24:25] op_sel:[0,0,1] op_sel_hi:[1,0,0] neg_lo:[0,0,1] neg_hi:[0,0,1]
	v_mov_b32_e32 v21, v3
	v_pk_add_f32 v[20:21], v[0:1], v[20:21]
	v_mov_b32_e32 v3, v25
	v_mov_b32_e32 v25, v9
	v_pk_add_f32 v[20:21], v[24:25], v[20:21]
	v_pk_mul_f32 v[24:25], v[16:17], s[16:17] op_sel_hi:[1,0]
	s_nop 0
	v_pk_fma_f32 v[34:35], v[14:15], s[14:15], v[24:25] op_sel:[0,0,1] op_sel_hi:[1,0,0]
	v_pk_fma_f32 v[24:25], v[14:15], s[14:15], v[24:25] op_sel:[0,0,1] op_sel_hi:[1,0,0] neg_lo:[0,0,1] neg_hi:[0,0,1]
	s_barrier
	v_mov_b32_e32 v9, v25
	v_mov_b32_e32 v25, v35
	v_pk_add_f32 v[20:21], v[24:25], v[20:21]
	v_pk_mul_f32 v[24:25], v[26:27], s[20:21] op_sel_hi:[1,0]
	s_nop 0
	v_pk_fma_f32 v[36:37], v[6:7], s[18:19], v[24:25] op_sel:[0,0,1] op_sel_hi:[1,0,0]
	v_pk_fma_f32 v[24:25], v[6:7], s[18:19], v[24:25] op_sel:[0,0,1] op_sel_hi:[1,0,0] neg_lo:[0,0,1] neg_hi:[0,0,1]
	v_pk_mul_f32 v[40:41], v[12:13], s[20:21] op_sel_hi:[1,0]
	v_mov_b32_e32 v35, v25
	v_mov_b32_e32 v25, v37
	v_pk_add_f32 v[20:21], v[24:25], v[20:21]
	v_pk_mul_f32 v[24:25], v[10:11], s[26:27] op_sel_hi:[1,0]
	v_pk_fma_f32 v[42:43], v[30:31], s[18:19], v[40:41] op_sel:[0,0,1] op_sel_hi:[1,0,0] neg_lo:[0,0,1] neg_hi:[0,0,1]
	v_pk_fma_f32 v[38:39], v[28:29], s[24:25], v[24:25] op_sel:[0,0,1] op_sel_hi:[1,0,0]
	v_pk_fma_f32 v[24:25], v[28:29], s[24:25], v[24:25] op_sel:[0,0,1] op_sel_hi:[1,0,0] neg_lo:[0,0,1] neg_hi:[0,0,1]
	v_pk_fma_f32 v[40:41], v[30:31], s[18:19], v[40:41] op_sel:[0,0,1] op_sel_hi:[1,0,0]
	v_mov_b32_e32 v37, v25
	v_mov_b32_e32 v25, v39
	v_pk_add_f32 v[20:21], v[24:25], v[20:21]
	v_mul_lo_u16_e32 v24, 11, v74
	v_lshlrev_b32_e32 v83, 3, v24
	ds_write2_b64 v83, v[22:23], v[20:21] offset1:1
	v_pk_mul_f32 v[20:21], v[18:19], s[28:29] op_sel_hi:[1,0]
	v_mov_b32_e32 v44, v42
	v_pk_fma_f32 v[22:23], v[4:5], s[2:3], v[20:21] op_sel:[0,0,1] op_sel_hi:[1,0,0] neg_lo:[0,0,1] neg_hi:[0,0,1]
	v_pk_fma_f32 v[20:21], v[4:5], s[2:3], v[20:21] op_sel:[0,0,1] op_sel_hi:[1,0,0]
	v_mov_b32_e32 v24, v22
	v_mov_b32_e32 v25, v21
	v_pk_add_f32 v[24:25], v[0:1], v[24:25]
	v_mov_b32_e32 v45, v41
	s_mov_b32 s28, 0x3e903f40
	v_pk_add_f32 v[24:25], v[44:45], v[24:25]
	v_pk_mul_f32 v[44:45], v[16:17], s[28:29] op_sel_hi:[1,0]
	v_pk_mul_f32 v[62:63], v[12:13], s[28:29] op_sel_hi:[1,0]
	v_pk_fma_f32 v[46:47], v[14:15], s[24:25], v[44:45] op_sel:[0,0,1] op_sel_hi:[1,0,0] neg_lo:[0,0,1] neg_hi:[0,0,1]
	v_pk_fma_f32 v[44:45], v[14:15], s[24:25], v[44:45] op_sel:[0,0,1] op_sel_hi:[1,0,0]
	v_mov_b32_e32 v48, v46
	v_mov_b32_e32 v49, v45
	v_pk_add_f32 v[24:25], v[48:49], v[24:25]
	v_pk_mul_f32 v[48:49], v[26:27], s[30:31] op_sel_hi:[1,0]
	v_pk_fma_f32 v[64:65], v[30:31], s[24:25], v[62:63] op_sel:[0,0,1] op_sel_hi:[1,0,0] neg_lo:[0,0,1] neg_hi:[0,0,1]
	v_pk_fma_f32 v[50:51], v[6:7], s[14:15], v[48:49] op_sel:[0,0,1] op_sel_hi:[1,0,0] neg_lo:[0,0,1] neg_hi:[0,0,1]
	v_pk_fma_f32 v[48:49], v[6:7], s[14:15], v[48:49] op_sel:[0,0,1] op_sel_hi:[1,0,0]
	v_mov_b32_e32 v52, v50
	v_mov_b32_e32 v53, v49
	v_pk_add_f32 v[24:25], v[52:53], v[24:25]
	v_pk_mul_f32 v[52:53], v[10:11], s[34:35] op_sel_hi:[1,0]
	v_pk_fma_f32 v[62:63], v[30:31], s[24:25], v[62:63] op_sel:[0,0,1] op_sel_hi:[1,0,0]
	v_pk_fma_f32 v[54:55], v[28:29], s[12:13], v[52:53] op_sel:[0,0,1] op_sel_hi:[1,0,0]
	v_pk_fma_f32 v[52:53], v[28:29], s[12:13], v[52:53] op_sel:[0,0,1] op_sel_hi:[1,0,0] neg_lo:[0,0,1] neg_hi:[0,0,1]
	v_mov_b32_e32 v66, v64
	v_mov_b32_e32 v57, v53
	;; [unrolled: 1-line block ×3, first 2 shown]
	v_pk_add_f32 v[24:25], v[52:53], v[24:25]
	v_pk_mul_f32 v[52:53], v[18:19], s[16:17] op_sel_hi:[1,0]
	v_mov_b32_e32 v67, v63
	v_pk_fma_f32 v[58:59], v[4:5], s[14:15], v[52:53] op_sel:[0,0,1] op_sel_hi:[1,0,0] neg_lo:[0,0,1] neg_hi:[0,0,1]
	v_pk_fma_f32 v[52:53], v[4:5], s[14:15], v[52:53] op_sel:[0,0,1] op_sel_hi:[1,0,0]
	v_mov_b32_e32 v60, v58
	v_mov_b32_e32 v61, v53
	v_pk_add_f32 v[60:61], v[0:1], v[60:61]
	s_mov_b32 s28, 0x3f68dda4
	v_pk_add_f32 v[60:61], v[66:67], v[60:61]
	v_pk_mul_f32 v[66:67], v[16:17], s[28:29] op_sel_hi:[1,0]
	v_pk_mul_f32 v[108:109], v[12:13], s[30:31] op_sel_hi:[1,0]
	v_pk_fma_f32 v[68:69], v[14:15], s[2:3], v[66:67] op_sel:[0,0,1] op_sel_hi:[1,0,0] neg_lo:[0,0,1] neg_hi:[0,0,1]
	v_pk_fma_f32 v[66:67], v[14:15], s[2:3], v[66:67] op_sel:[0,0,1] op_sel_hi:[1,0,0]
	v_mov_b32_e32 v70, v68
	v_mov_b32_e32 v71, v67
	v_pk_add_f32 v[60:61], v[70:71], v[60:61]
	v_pk_mul_f32 v[70:71], v[26:27], s[22:23] op_sel_hi:[1,0]
	v_pk_fma_f32 v[110:111], v[30:31], s[14:15], v[108:109] op_sel:[0,0,1] op_sel_hi:[1,0,0] neg_lo:[0,0,1] neg_hi:[0,0,1]
	v_pk_fma_f32 v[100:101], v[6:7], s[12:13], v[70:71] op_sel:[0,0,1] op_sel_hi:[1,0,0] neg_lo:[0,0,1] neg_hi:[0,0,1]
	v_pk_fma_f32 v[70:71], v[6:7], s[12:13], v[70:71] op_sel:[0,0,1] op_sel_hi:[1,0,0]
	v_mov_b32_e32 v102, v100
	v_mov_b32_e32 v103, v71
	v_pk_add_f32 v[60:61], v[102:103], v[60:61]
	v_pk_mul_f32 v[102:103], v[10:11], s[20:21] op_sel_hi:[1,0]
	v_pk_fma_f32 v[108:109], v[30:31], s[14:15], v[108:109] op_sel:[0,0,1] op_sel_hi:[1,0,0]
	v_pk_fma_f32 v[104:105], v[28:29], s[18:19], v[102:103] op_sel:[0,0,1] op_sel_hi:[1,0,0] neg_lo:[0,0,1] neg_hi:[0,0,1]
	v_pk_fma_f32 v[102:103], v[28:29], s[18:19], v[102:103] op_sel:[0,0,1] op_sel_hi:[1,0,0]
	v_mov_b32_e32 v106, v104
	v_mov_b32_e32 v107, v103
	v_pk_add_f32 v[60:61], v[106:107], v[60:61]
	ds_write2_b64 v83, v[24:25], v[60:61] offset0:2 offset1:3
	v_pk_mul_f32 v[24:25], v[18:19], s[20:21] op_sel_hi:[1,0]
	v_mov_b32_e32 v112, v110
	v_pk_fma_f32 v[60:61], v[4:5], s[18:19], v[24:25] op_sel:[0,0,1] op_sel_hi:[1,0,0] neg_lo:[0,0,1] neg_hi:[0,0,1]
	v_pk_fma_f32 v[24:25], v[4:5], s[18:19], v[24:25] op_sel:[0,0,1] op_sel_hi:[1,0,0]
	v_mov_b32_e32 v106, v60
	v_mov_b32_e32 v107, v25
	v_pk_add_f32 v[106:107], v[0:1], v[106:107]
	v_mov_b32_e32 v113, v109
	v_pk_add_f32 v[106:107], v[112:113], v[106:107]
	v_pk_mul_f32 v[112:113], v[16:17], s[22:23] op_sel_hi:[1,0]
	v_pk_mul_f32 v[18:19], v[18:19], s[26:27] op_sel_hi:[1,0]
	v_pk_fma_f32 v[114:115], v[14:15], s[12:13], v[112:113] op_sel:[0,0,1] op_sel_hi:[1,0,0] neg_lo:[0,0,1] neg_hi:[0,0,1]
	v_pk_fma_f32 v[112:113], v[14:15], s[12:13], v[112:113] op_sel:[0,0,1] op_sel_hi:[1,0,0]
	v_mov_b32_e32 v116, v114
	v_mov_b32_e32 v117, v113
	v_pk_add_f32 v[106:107], v[116:117], v[106:107]
	v_pk_mul_f32 v[116:117], v[26:27], s[26:27] op_sel_hi:[1,0]
	v_pk_mul_f32 v[12:13], v[12:13], s[34:35] op_sel_hi:[1,0]
	v_pk_fma_f32 v[118:119], v[6:7], s[24:25], v[116:117] op_sel:[0,0,1] op_sel_hi:[1,0,0] neg_lo:[0,0,1] neg_hi:[0,0,1]
	v_pk_fma_f32 v[116:117], v[6:7], s[24:25], v[116:117] op_sel:[0,0,1] op_sel_hi:[1,0,0]
	v_mov_b32_e32 v120, v118
	;; [unrolled: 7-line block ×3, first 2 shown]
	v_mov_b32_e32 v125, v121
	v_pk_add_f32 v[106:107], v[124:125], v[106:107]
	v_pk_fma_f32 v[124:125], v[4:5], s[24:25], v[18:19] op_sel:[0,0,1] op_sel_hi:[1,0,0] neg_lo:[0,0,1] neg_hi:[0,0,1]
	v_pk_fma_f32 v[4:5], v[4:5], s[24:25], v[18:19] op_sel:[0,0,1] op_sel_hi:[1,0,0]
	v_pk_fma_f32 v[18:19], v[30:31], s[12:13], v[12:13] op_sel:[0,0,1] op_sel_hi:[1,0,0] neg_lo:[0,0,1] neg_hi:[0,0,1]
	v_pk_fma_f32 v[12:13], v[30:31], s[12:13], v[12:13] op_sel:[0,0,1] op_sel_hi:[1,0,0]
	v_mov_b32_e32 v30, v124
	v_mov_b32_e32 v31, v5
	v_pk_add_f32 v[30:31], v[0:1], v[30:31]
	v_mov_b32_e32 v126, v18
	v_mov_b32_e32 v127, v13
	v_pk_add_f32 v[30:31], v[126:127], v[30:31]
	v_pk_fma_f32 v[126:127], v[14:15], s[18:19], v[16:17] op_sel:[0,0,1] op_sel_hi:[1,0,0] neg_lo:[0,0,1] neg_hi:[0,0,1]
	v_pk_fma_f32 v[14:15], v[14:15], s[18:19], v[16:17] op_sel:[0,0,1] op_sel_hi:[1,0,0]
	v_mov_b32_e32 v5, v125
	v_mov_b32_e32 v16, v126
	;; [unrolled: 1-line block ×3, first 2 shown]
	v_pk_mul_f32 v[26:27], v[26:27], s[28:29] op_sel_hi:[1,0]
	v_mov_b32_e32 v13, v19
	v_pk_add_f32 v[4:5], v[0:1], v[4:5]
	v_pk_add_f32 v[16:17], v[16:17], v[30:31]
	v_pk_fma_f32 v[30:31], v[6:7], s[2:3], v[26:27] op_sel:[0,0,1] op_sel_hi:[1,0,0] neg_lo:[0,0,1] neg_hi:[0,0,1]
	v_pk_fma_f32 v[6:7], v[6:7], s[2:3], v[26:27] op_sel:[0,0,1] op_sel_hi:[1,0,0]
	v_pk_add_f32 v[4:5], v[12:13], v[4:5]
	v_mov_b32_e32 v15, v127
	v_mov_b32_e32 v27, v7
	v_pk_add_f32 v[4:5], v[14:15], v[4:5]
	v_mov_b32_e32 v7, v31
	v_mov_b32_e32 v25, v61
	v_pk_add_f32 v[4:5], v[6:7], v[4:5]
	v_mov_b32_e32 v109, v111
	v_pk_add_f32 v[6:7], v[0:1], v[24:25]
	v_mov_b32_e32 v26, v30
	v_pk_mul_f32 v[10:11], v[10:11], s[16:17] op_sel_hi:[1,0]
	v_pk_add_f32 v[6:7], v[108:109], v[6:7]
	v_mov_b32_e32 v113, v115
	v_pk_add_f32 v[16:17], v[26:27], v[16:17]
	v_pk_fma_f32 v[26:27], v[28:29], s[14:15], v[10:11] op_sel:[0,0,1] op_sel_hi:[1,0,0] neg_lo:[0,0,1] neg_hi:[0,0,1]
	v_pk_fma_f32 v[10:11], v[28:29], s[14:15], v[10:11] op_sel:[0,0,1] op_sel_hi:[1,0,0]
	v_pk_add_f32 v[6:7], v[112:113], v[6:7]
	v_mov_b32_e32 v117, v119
	v_mov_b32_e32 v29, v11
	;; [unrolled: 1-line block ×3, first 2 shown]
	v_pk_add_f32 v[6:7], v[116:117], v[6:7]
	v_mov_b32_e32 v121, v123
	v_pk_add_f32 v[4:5], v[10:11], v[4:5]
	v_pk_add_f32 v[6:7], v[120:121], v[6:7]
	v_mov_b32_e32 v32, v2
	ds_write2_b64 v83, v[4:5], v[6:7] offset0:6 offset1:7
	v_mov_b32_e32 v2, v8
	v_pk_add_f32 v[4:5], v[0:1], v[32:33]
	v_mov_b32_e32 v8, v34
	v_pk_add_f32 v[2:3], v[2:3], v[4:5]
	;; [unrolled: 2-line block ×4, first 2 shown]
	v_mov_b32_e32 v21, v23
	v_mov_b32_e32 v53, v59
	v_pk_add_f32 v[38:39], v[36:37], v[2:3]
	v_mov_b32_e32 v41, v43
	v_pk_add_f32 v[2:3], v[0:1], v[20:21]
	v_pk_add_f32 v[0:1], v[0:1], v[52:53]
	v_mov_b32_e32 v63, v65
	v_pk_add_f32 v[2:3], v[40:41], v[2:3]
	v_mov_b32_e32 v45, v47
	;; [unrolled: 2-line block ×5, first 2 shown]
	v_mov_b32_e32 v28, v26
	v_mov_b32_e32 v56, v54
	v_pk_add_f32 v[2:3], v[48:49], v[2:3]
	v_pk_add_f32 v[0:1], v[70:71], v[0:1]
	v_mov_b32_e32 v103, v105
	v_pk_add_f32 v[16:17], v[28:29], v[16:17]
	v_pk_add_f32 v[28:29], v[56:57], v[2:3]
	v_pk_add_f32 v[0:1], v[102:103], v[0:1]
	v_add_u32_e32 v4, 0x1200, v72
	ds_write2_b64 v83, v[106:107], v[16:17] offset0:4 offset1:5
	ds_write2_b64 v83, v[0:1], v[28:29] offset0:8 offset1:9
	ds_write_b64 v83, v[38:39] offset:80
	s_waitcnt lgkmcnt(0)
	s_barrier
	ds_read2_b64 v[24:27], v4 offset0:29 offset1:194
	v_add_u32_e32 v4, 0x2400, v72
	ds_read2_b64 v[0:3], v72 offset1:165
	ds_read2_b64 v[4:7], v4 offset0:58 offset1:223
	ds_read_b64 v[30:31], v72 offset:2640
	ds_read_b64 v[34:35], v72 offset:7480
	;; [unrolled: 1-line block ×3, first 2 shown]
	s_load_dwordx2 s[12:13], s[0:1], 0x38
	s_movk_i32 s0, 0x6e
	v_cmp_gt_u16_e32 vcc, s0, v74
                                        ; implicit-def: $vgpr40
                                        ; implicit-def: $vgpr42
	s_and_saveexec_b64 s[0:1], vcc
	s_cbranch_execz .LBB0_3
; %bb.2:
	ds_read_b64 v[40:41], v72 offset:13640
	ds_read_b64 v[28:29], v72 offset:3960
	;; [unrolled: 1-line block ×3, first 2 shown]
	s_waitcnt lgkmcnt(0)
	v_mov_b32_e32 v42, v41
.LBB0_3:
	s_or_b64 exec, exec, s[0:1]
	s_mov_b64 s[0:1], 0xa5
	v_lshl_add_u64 v[36:37], v[74:75], 0, s[0:1]
	s_movk_i32 s0, 0x75
	v_mul_lo_u16_sdwa v8, v74, s0 dst_sel:DWORD dst_unused:UNUSED_PAD src0_sel:BYTE_0 src1_sel:DWORD
	v_sub_u16_sdwa v9, v74, v8 dst_sel:DWORD dst_unused:UNUSED_PAD src0_sel:DWORD src1_sel:BYTE_1
	v_lshrrev_b16_e32 v9, 1, v9
	v_and_b32_e32 v9, 0x7f, v9
	v_add_u16_sdwa v12, v9, v8 dst_sel:DWORD dst_unused:UNUSED_PAD src0_sel:DWORD src1_sel:BYTE_1
	v_add_u16_e32 v8, 0x1ef, v74
	v_mul_u32_u24_e32 v9, 0xba2f, v8
	v_lshrrev_b32_e32 v75, 19, v9
	s_mov_b32 s0, 0xba2f
	v_mul_lo_u16_e32 v9, 11, v75
	v_lshrrev_b16_e32 v41, 3, v12
	v_mul_u32_u24_sdwa v13, v36, s0 dst_sel:DWORD dst_unused:UNUSED_PAD src0_sel:WORD_0 src1_sel:DWORD
	v_sub_u16_e32 v130, v8, v9
	v_mul_lo_u16_e32 v12, 11, v41
	v_lshrrev_b32_e32 v44, 19, v13
	v_lshlrev_b16_e32 v8, 1, v130
	v_sub_u16_e32 v12, v74, v12
	v_mul_lo_u16_e32 v13, 11, v44
	v_lshlrev_b32_e32 v8, 3, v8
	v_and_b32_e32 v43, 0xff, v12
	v_sub_u16_e32 v45, v36, v13
	global_load_dwordx4 v[8:11], v8, s[10:11]
	v_lshlrev_b32_e32 v12, 4, v43
	global_load_dwordx4 v[12:15], v12, s[10:11]
	v_lshlrev_b16_e32 v16, 1, v45
	v_lshlrev_b32_e32 v16, 3, v16
	global_load_dwordx4 v[16:19], v16, s[10:11]
	v_add_u16_e32 v37, 0x14a, v74
	v_mul_u32_u24_e32 v20, 0xba2f, v37
	v_lshrrev_b32_e32 v56, 19, v20
	v_mul_lo_u16_e32 v20, 11, v56
	v_sub_u16_e32 v57, v37, v20
	v_lshlrev_b16_e32 v20, 1, v57
	v_lshlrev_b32_e32 v20, 3, v20
	global_load_dwordx4 v[20:23], v20, s[10:11]
	v_mad_legacy_u16 v44, v44, 33, v45
	v_mul_u32_u24_e32 v41, 33, v41
	v_lshlrev_b32_e32 v131, 3, v44
	v_add_lshl_u32 v132, v41, v43, 3
	s_mov_b32 s0, 0x3f5db3d7
	s_waitcnt lgkmcnt(0)
	s_barrier
	s_waitcnt vmcnt(3)
	v_pk_mul_f32 v[46:47], v[38:39], v[8:9] op_sel:[1,1] op_sel_hi:[1,0]
	v_mov_b32_e32 v48, v11
	v_mov_b32_e32 v49, v10
	v_pk_fma_f32 v[44:45], v[38:39], v[8:9], v[46:47] neg_lo:[0,0,1] neg_hi:[0,0,1]
	v_pk_fma_f32 v[38:39], v[38:39], v[8:9], v[46:47] op_sel_hi:[0,1,1]
	v_pk_mul_f32 v[42:43], v[42:43], v[48:49] op_sel_hi:[0,1]
	s_waitcnt vmcnt(2)
	v_pk_mul_f32 v[46:47], v[24:25], v[12:13] op_sel:[0,1]
	v_mov_b32_e32 v48, v15
	v_mov_b32_e32 v45, v39
	v_pk_fma_f32 v[38:39], v[40:41], v[10:11], v[42:43] neg_lo:[0,0,1] neg_hi:[0,0,1]
	v_pk_fma_f32 v[40:41], v[40:41], v[10:11], v[42:43] op_sel_hi:[0,1,1]
	s_waitcnt vmcnt(1)
	v_pk_mul_f32 v[50:51], v[26:27], v[16:17] op_sel:[0,1]
	v_mov_b32_e32 v52, v19
	v_pk_fma_f32 v[54:55], v[24:25], v[12:13], v[46:47] op_sel:[0,0,1] op_sel_hi:[1,1,0] neg_lo:[0,0,1] neg_hi:[0,0,1]
	v_pk_fma_f32 v[24:25], v[24:25], v[12:13], v[46:47] op_sel:[0,0,1] op_sel_hi:[1,0,0]
	v_pk_mul_f32 v[46:47], v[4:5], v[48:49] op_sel_hi:[1,0]
	v_mov_b32_e32 v39, v41
	v_pk_fma_f32 v[48:49], v[26:27], v[16:17], v[50:51] op_sel:[0,0,1] op_sel_hi:[1,1,0] neg_lo:[0,0,1] neg_hi:[0,0,1]
	v_pk_fma_f32 v[26:27], v[26:27], v[16:17], v[50:51] op_sel:[0,0,1] op_sel_hi:[1,0,0]
	v_pk_mul_f32 v[50:51], v[6:7], v[52:53] op_sel_hi:[1,0]
	v_mov_b32_e32 v55, v25
	v_pk_fma_f32 v[24:25], v[4:5], v[14:15], v[46:47] op_sel:[0,0,1] op_sel_hi:[1,1,0] neg_lo:[0,0,1] neg_hi:[0,0,1]
	v_pk_fma_f32 v[4:5], v[4:5], v[14:15], v[46:47] op_sel:[0,0,1] op_sel_hi:[1,0,0]
	v_pk_add_f32 v[40:41], v[44:45], v[38:39]
	v_pk_add_f32 v[42:43], v[44:45], v[38:39] neg_lo:[0,1] neg_hi:[0,1]
	v_mov_b32_e32 v49, v27
	v_pk_fma_f32 v[26:27], v[6:7], v[18:19], v[50:51] op_sel:[0,0,1] op_sel_hi:[1,1,0] neg_lo:[0,0,1] neg_hi:[0,0,1]
	v_pk_fma_f32 v[6:7], v[6:7], v[18:19], v[50:51] op_sel:[0,0,1] op_sel_hi:[1,0,0]
	v_mov_b32_e32 v25, v5
	v_pk_add_f32 v[4:5], v[0:1], v[54:55]
	v_pk_fma_f32 v[40:41], v[40:41], 0.5, v[28:29] op_sel_hi:[1,0,1] neg_lo:[1,0,0] neg_hi:[1,0,0]
	v_pk_mul_f32 v[42:43], v[42:43], s[0:1] op_sel_hi:[1,0]
	v_mov_b32_e32 v27, v7
	v_pk_add_f32 v[4:5], v[4:5], v[24:25]
	v_pk_add_f32 v[6:7], v[54:55], v[24:25]
	v_pk_add_f32 v[24:25], v[54:55], v[24:25] neg_lo:[0,1] neg_hi:[0,1]
	v_pk_add_f32 v[52:53], v[40:41], v[42:43] op_sel:[0,1] op_sel_hi:[1,0]
	v_pk_add_f32 v[62:63], v[40:41], v[42:43] op_sel:[0,1] op_sel_hi:[1,0] neg_lo:[0,1] neg_hi:[0,1]
	v_pk_add_f32 v[40:41], v[48:49], v[26:27]
	v_pk_fma_f32 v[0:1], v[6:7], 0.5, v[0:1] op_sel_hi:[1,0,1] neg_lo:[1,0,0] neg_hi:[1,0,0]
	v_pk_mul_f32 v[6:7], v[24:25], s[0:1] op_sel_hi:[1,0]
	v_pk_fma_f32 v[24:25], v[40:41], 0.5, v[2:3] op_sel_hi:[1,0,1] neg_lo:[1,0,0] neg_hi:[1,0,0]
	v_pk_add_f32 v[40:41], v[0:1], v[6:7] op_sel:[0,1] op_sel_hi:[1,0]
	v_pk_add_f32 v[0:1], v[0:1], v[6:7] op_sel:[0,1] op_sel_hi:[1,0] neg_lo:[0,1] neg_hi:[0,1]
	v_pk_add_f32 v[42:43], v[48:49], v[26:27] neg_lo:[0,1] neg_hi:[0,1]
	v_mov_b32_e32 v6, v40
	v_mov_b32_e32 v7, v1
	;; [unrolled: 1-line block ×3, first 2 shown]
	ds_write2_b64 v132, v[4:5], v[6:7] offset1:11
	ds_write_b64 v132, v[0:1] offset:176
	v_pk_mul_f32 v[0:1], v[42:43], s[0:1] op_sel_hi:[1,0]
	v_pk_add_f32 v[2:3], v[2:3], v[48:49]
	v_pk_add_f32 v[4:5], v[24:25], v[0:1] op_sel:[0,1] op_sel_hi:[1,0] neg_lo:[0,1] neg_hi:[0,1]
	v_pk_add_f32 v[0:1], v[24:25], v[0:1] op_sel:[0,1] op_sel_hi:[1,0]
	v_pk_add_f32 v[2:3], v[2:3], v[26:27]
	v_mov_b32_e32 v6, v0
	v_mad_legacy_u16 v0, v56, 33, v57
	v_mov_b32_e32 v7, v5
	v_mov_b32_e32 v5, v1
	v_lshlrev_b32_e32 v133, 3, v0
	s_waitcnt vmcnt(0)
	v_pk_mul_f32 v[0:1], v[34:35], v[20:21] op_sel:[0,1]
	ds_write2_b64 v131, v[2:3], v[6:7] offset1:11
	v_pk_fma_f32 v[2:3], v[34:35], v[20:21], v[0:1] op_sel:[0,0,1] op_sel_hi:[1,1,0] neg_lo:[0,0,1] neg_hi:[0,0,1]
	v_pk_fma_f32 v[0:1], v[34:35], v[20:21], v[0:1] op_sel:[0,0,1] op_sel_hi:[1,0,0]
	ds_write_b64 v131, v[4:5] offset:176
	v_mov_b32_e32 v0, v23
	v_mov_b32_e32 v3, v1
	v_pk_mul_f32 v[0:1], v[32:33], v[0:1] op_sel_hi:[1,0]
	v_mov_b32_e32 v60, v52
	v_pk_fma_f32 v[4:5], v[32:33], v[22:23], v[0:1] op_sel:[0,0,1] op_sel_hi:[1,1,0] neg_lo:[0,0,1] neg_hi:[0,0,1]
	v_pk_fma_f32 v[0:1], v[32:33], v[22:23], v[0:1] op_sel:[0,0,1] op_sel_hi:[1,0,0]
	v_mov_b32_e32 v61, v63
	v_mov_b32_e32 v5, v1
	v_pk_add_f32 v[0:1], v[2:3], v[4:5]
	v_pk_add_f32 v[6:7], v[2:3], v[4:5] neg_lo:[0,1] neg_hi:[0,1]
	v_pk_fma_f32 v[0:1], v[0:1], 0.5, v[30:31] op_sel_hi:[1,0,1] neg_lo:[1,0,0] neg_hi:[1,0,0]
	v_pk_mul_f32 v[6:7], v[6:7], s[0:1] op_sel_hi:[1,0]
	v_pk_add_f32 v[2:3], v[30:31], v[2:3]
	v_pk_add_f32 v[24:25], v[0:1], v[6:7] op_sel:[0,1] op_sel_hi:[1,0] neg_lo:[0,1] neg_hi:[0,1]
	v_pk_add_f32 v[0:1], v[0:1], v[6:7] op_sel:[0,1] op_sel_hi:[1,0]
	v_mov_b32_e32 v63, v53
	v_pk_add_f32 v[2:3], v[2:3], v[4:5]
	v_mov_b32_e32 v4, v0
	v_mov_b32_e32 v5, v25
	;; [unrolled: 1-line block ×3, first 2 shown]
	ds_write2_b64 v133, v[2:3], v[4:5] offset1:11
	ds_write_b64 v133, v[24:25] offset:176
	s_and_saveexec_b64 s[0:1], vcc
	s_cbranch_execz .LBB0_5
; %bb.4:
	v_mad_legacy_u16 v0, v75, 33, v130
	v_lshlrev_b32_e32 v2, 3, v0
	v_pk_add_f32 v[0:1], v[28:29], v[44:45]
	s_nop 0
	v_pk_add_f32 v[0:1], v[0:1], v[38:39]
	ds_write2_b64 v2, v[0:1], v[60:61] offset1:11
	ds_write_b64 v2, v[62:63] offset:176
.LBB0_5:
	s_or_b64 exec, exec, s[0:1]
	v_add_u32_e32 v0, 0xa00, v72
	s_waitcnt lgkmcnt(0)
	s_barrier
	ds_read2_b64 v[56:59], v0 offset0:43 offset1:208
	v_add_u32_e32 v0, 0x1400, v72
	ds_read2_b64 v[52:55], v0 offset0:86 offset1:251
	v_add_u32_e32 v0, 0x2000, v72
	;; [unrolled: 2-line block ×3, first 2 shown]
	ds_read2_b64 v[32:35], v72 offset1:165
	ds_read2_b64 v[44:47], v0 offset0:44 offset1:209
	v_cmp_gt_u16_e64 s[0:1], 33, v74
                                        ; implicit-def: $vgpr66
                                        ; implicit-def: $vgpr100
                                        ; implicit-def: $vgpr68
                                        ; implicit-def: $vgpr102
                                        ; implicit-def: $vgpr70
                                        ; implicit-def: $vgpr104
	s_and_saveexec_b64 s[2:3], s[0:1]
	s_cbranch_execz .LBB0_7
; %bb.6:
	ds_read_b64 v[66:67], v72 offset:8448
	ds_read_b64 v[68:69], v72 offset:11352
	;; [unrolled: 1-line block ×5, first 2 shown]
	s_waitcnt lgkmcnt(4)
	v_mov_b32_e32 v100, v67
	s_waitcnt lgkmcnt(3)
	v_mov_b32_e32 v102, v69
	;; [unrolled: 2-line block ×3, first 2 shown]
.LBB0_7:
	s_or_b64 exec, exec, s[2:3]
	s_movk_i32 s2, 0xf9
	v_mul_lo_u16_sdwa v0, v74, s2 dst_sel:DWORD dst_unused:UNUSED_PAD src0_sel:BYTE_0 src1_sel:DWORD
	v_lshrrev_b16_e32 v38, 13, v0
	v_mul_lo_u16_e32 v0, 33, v38
	v_sub_u16_e32 v0, v74, v0
	v_and_b32_e32 v39, 0xff, v0
	v_lshlrev_b32_e32 v0, 5, v39
	s_mov_b32 s2, 0xf83f
	global_load_dwordx4 v[24:27], v0, s[10:11] offset:192
	global_load_dwordx4 v[28:31], v0, s[10:11] offset:176
	v_mul_u32_u24_sdwa v0, v36, s2 dst_sel:DWORD dst_unused:UNUSED_PAD src0_sel:WORD_0 src1_sel:DWORD
	v_lshrrev_b32_e32 v73, 21, v0
	v_mul_lo_u16_e32 v0, 33, v73
	v_sub_u16_e32 v122, v36, v0
	v_mul_u32_u24_e32 v0, 0xf83f, v37
	v_lshrrev_b32_e32 v0, 21, v0
	v_mul_lo_u16_e32 v0, 33, v0
	v_lshlrev_b16_e32 v64, 5, v122
	v_mov_b32_e32 v65, 0
	v_sub_u16_e32 v123, v37, v0
	v_lshl_add_u64 v[106:107], s[10:11], 0, v[64:65]
	v_lshlrev_b16_e32 v64, 5, v123
	v_lshl_add_u64 v[36:37], s[10:11], 0, v[64:65]
	global_load_dwordx4 v[4:7], v[36:37], off offset:176
	global_load_dwordx4 v[0:3], v[36:37], off offset:192
	v_mul_u32_u24_e32 v36, 0xa5, v38
	v_add_lshl_u32 v136, v36, v39, 3
	global_load_dwordx4 v[36:39], v[106:107], off offset:192
	global_load_dwordx4 v[40:43], v[106:107], off offset:176
	s_waitcnt lgkmcnt(0)
	v_mov_b32_e32 v64, v63
	s_mov_b32 s2, 0x3f737871
	s_movk_i32 s3, 0xa5
	s_mov_b32 s14, 0x3f167918
	s_mov_b32 s16, 0x3e9e377a
	s_barrier
	v_lshlrev_b32_e32 v137, 3, v123
	s_waitcnt vmcnt(5)
	v_pk_mul_f32 v[110:111], v[48:49], v[24:25] op_sel:[0,1]
	s_waitcnt vmcnt(4)
	v_pk_mul_f32 v[106:107], v[56:57], v[28:29] op_sel:[0,1]
	v_pk_fma_f32 v[118:119], v[48:49], v[24:25], v[110:111] op_sel:[0,0,1] op_sel_hi:[1,1,0] neg_lo:[0,0,1] neg_hi:[0,0,1]
	v_pk_fma_f32 v[116:117], v[56:57], v[28:29], v[106:107] op_sel:[0,0,1] op_sel_hi:[1,1,0] neg_lo:[0,0,1] neg_hi:[0,0,1]
	v_pk_fma_f32 v[106:107], v[56:57], v[28:29], v[106:107] op_sel:[0,0,1] op_sel_hi:[1,0,0]
	v_pk_fma_f32 v[110:111], v[48:49], v[24:25], v[110:111] op_sel:[0,0,1] op_sel_hi:[1,0,0]
	v_mov_b32_e32 v108, v31
	v_pk_mul_f32 v[108:109], v[52:53], v[108:109] op_sel_hi:[1,0]
	v_mov_b32_e32 v117, v107
	v_pk_fma_f32 v[120:121], v[52:53], v[30:31], v[108:109] op_sel:[0,0,1] op_sel_hi:[1,1,0] neg_lo:[0,0,1] neg_hi:[0,0,1]
	v_pk_fma_f32 v[52:53], v[52:53], v[30:31], v[108:109] op_sel:[0,0,1] op_sel_hi:[1,0,0]
	v_mov_b32_e32 v112, v27
	v_mov_b32_e32 v121, v53
	;; [unrolled: 1-line block ×3, first 2 shown]
	s_waitcnt vmcnt(3)
	v_pk_mul_f32 v[114:115], v[64:65], v[4:5] op_sel_hi:[0,1]
	v_pk_mul_f32 v[100:101], v[100:101], v[6:7] op_sel_hi:[0,1]
	s_waitcnt vmcnt(2)
	v_pk_mul_f32 v[104:105], v[104:105], v[2:3] op_sel_hi:[0,1]
	v_pk_mul_f32 v[102:103], v[102:103], v[0:1] op_sel_hi:[0,1]
	v_pk_fma_f32 v[48:49], v[62:63], v[4:5], v[114:115] op_sel:[0,0,1] op_sel_hi:[1,1,0] neg_lo:[0,0,1] neg_hi:[0,0,1]
	v_pk_fma_f32 v[114:115], v[62:63], v[4:5], v[114:115] op_sel:[0,0,1] op_sel_hi:[0,1,0]
	v_pk_fma_f32 v[56:57], v[66:67], v[6:7], v[100:101] op_sel:[0,0,1] op_sel_hi:[1,1,0] neg_lo:[0,0,1] neg_hi:[0,0,1]
	v_pk_fma_f32 v[100:101], v[66:67], v[6:7], v[100:101] op_sel:[0,0,1] op_sel_hi:[0,1,0]
	;; [unrolled: 2-line block ×4, first 2 shown]
	v_mov_b32_e32 v49, v115
	v_mov_b32_e32 v67, v71
	;; [unrolled: 1-line block ×4, first 2 shown]
	v_pk_add_f32 v[70:71], v[48:49], v[66:67]
	v_pk_add_f32 v[68:69], v[56:57], v[62:63] neg_lo:[0,1] neg_hi:[0,1]
	v_pk_add_f32 v[100:101], v[56:57], v[48:49] neg_lo:[0,1] neg_hi:[0,1]
	;; [unrolled: 1-line block ×3, first 2 shown]
	v_pk_add_f32 v[104:105], v[56:57], v[62:63]
	v_pk_add_f32 v[106:107], v[48:49], v[56:57] neg_lo:[0,1] neg_hi:[0,1]
	v_pk_add_f32 v[108:109], v[66:67], v[62:63] neg_lo:[0,1] neg_hi:[0,1]
	v_pk_fma_f32 v[70:71], v[70:71], 0.5, v[60:61] op_sel_hi:[1,0,1] neg_lo:[1,0,0] neg_hi:[1,0,0]
	v_pk_add_f32 v[52:53], v[48:49], v[66:67] neg_lo:[0,1] neg_hi:[0,1]
	v_pk_add_f32 v[102:103], v[100:101], v[102:103]
	v_pk_fma_f32 v[100:101], v[104:105], 0.5, v[60:61] op_sel_hi:[1,0,1] neg_lo:[1,0,0] neg_hi:[1,0,0]
	v_pk_add_f32 v[104:105], v[106:107], v[108:109]
	v_pk_fma_f32 v[106:107], v[68:69], s[2:3], v[70:71] op_sel:[1,0,0] op_sel_hi:[0,0,1] neg_lo:[1,0,0] neg_hi:[1,0,0]
	v_pk_fma_f32 v[70:71], v[68:69], s[2:3], v[70:71] op_sel:[1,0,0] op_sel_hi:[0,0,1]
	v_pk_fma_f32 v[108:109], v[52:53], s[2:3], v[100:101] op_sel:[1,0,0] op_sel_hi:[0,0,1] neg_lo:[1,0,0] neg_hi:[1,0,0]
	v_pk_fma_f32 v[100:101], v[52:53], s[2:3], v[100:101] op_sel:[1,0,0] op_sel_hi:[0,0,1]
	;; [unrolled: 2-line block ×3, first 2 shown]
	v_pk_fma_f32 v[100:101], v[68:69], s[14:15], v[100:101] op_sel:[1,0,0] op_sel_hi:[0,0,1]
	v_pk_fma_f32 v[68:69], v[68:69], s[14:15], v[108:109] op_sel:[1,0,0] op_sel_hi:[0,0,1] neg_lo:[1,0,0] neg_hi:[1,0,0]
	v_mov_b32_e32 v108, v52
	v_mov_b32_e32 v109, v71
	;; [unrolled: 1-line block ×3, first 2 shown]
	v_pk_mul_f32 v[52:53], v[44:45], v[112:113] op_sel_hi:[1,0]
	v_mov_b32_e32 v110, v68
	v_mov_b32_e32 v111, v101
	;; [unrolled: 1-line block ×3, first 2 shown]
	v_pk_fma_f32 v[68:69], v[44:45], v[26:27], v[52:53] op_sel:[0,0,1] op_sel_hi:[1,1,0] neg_lo:[0,0,1] neg_hi:[0,0,1]
	v_pk_fma_f32 v[44:45], v[44:45], v[26:27], v[52:53] op_sel:[0,0,1] op_sel_hi:[1,0,0]
	v_pk_fma_f32 v[106:107], v[104:105], s[16:17], v[100:101] op_sel_hi:[1,0,1]
	v_mov_b32_e32 v69, v45
	v_pk_fma_f32 v[100:101], v[104:105], s[16:17], v[110:111] op_sel_hi:[1,0,1]
	v_pk_fma_f32 v[104:105], v[102:103], s[16:17], v[108:109] op_sel_hi:[1,0,1]
	;; [unrolled: 1-line block ×3, first 2 shown]
	v_pk_add_f32 v[52:53], v[120:121], v[118:119]
	v_pk_add_f32 v[70:71], v[116:117], v[68:69] neg_lo:[0,1] neg_hi:[0,1]
	v_pk_fma_f32 v[52:53], v[52:53], 0.5, v[32:33] op_sel_hi:[1,0,1] neg_lo:[1,0,0] neg_hi:[1,0,0]
	v_pk_mul_f32 v[108:109], v[70:71], s[2:3] op_sel_hi:[1,0]
	v_pk_add_f32 v[110:111], v[120:121], v[118:119] neg_lo:[0,1] neg_hi:[0,1]
	v_pk_add_f32 v[112:113], v[116:117], v[120:121] neg_lo:[0,1] neg_hi:[0,1]
	;; [unrolled: 1-line block ×3, first 2 shown]
	v_pk_add_f32 v[44:45], v[32:33], v[116:117]
	v_pk_add_f32 v[112:113], v[112:113], v[114:115]
	v_pk_add_f32 v[114:115], v[52:53], v[108:109] op_sel:[0,1] op_sel_hi:[1,0]
	v_pk_add_f32 v[52:53], v[52:53], v[108:109] op_sel:[0,1] op_sel_hi:[1,0] neg_lo:[0,1] neg_hi:[0,1]
	v_pk_mul_f32 v[108:109], v[110:111], s[14:15] op_sel_hi:[1,0]
	v_pk_add_f32 v[44:45], v[44:45], v[120:121]
	v_pk_add_f32 v[52:53], v[52:53], v[108:109] op_sel:[0,1] op_sel_hi:[1,0] neg_lo:[0,1] neg_hi:[0,1]
	v_pk_add_f32 v[108:109], v[114:115], v[108:109] op_sel:[0,1] op_sel_hi:[1,0]
	v_pk_add_f32 v[44:45], v[44:45], v[118:119]
	v_mov_b32_e32 v114, v108
	v_mov_b32_e32 v115, v53
	v_pk_add_f32 v[44:45], v[44:45], v[68:69]
	v_pk_fma_f32 v[114:115], v[112:113], s[16:17], v[114:115] op_sel_hi:[1,0,1]
	ds_write2_b64 v136, v[44:45], v[114:115] offset1:33
	v_pk_add_f32 v[44:45], v[116:117], v[68:69]
	v_pk_add_f32 v[68:69], v[118:119], v[68:69] neg_lo:[0,1] neg_hi:[0,1]
	v_pk_fma_f32 v[32:33], v[44:45], 0.5, v[32:33] op_sel_hi:[1,0,1] neg_lo:[1,0,0] neg_hi:[1,0,0]
	v_pk_add_f32 v[44:45], v[120:121], v[116:117] neg_lo:[0,1] neg_hi:[0,1]
	v_pk_mul_f32 v[70:71], v[70:71], s[14:15] op_sel_hi:[1,0]
	v_pk_add_f32 v[44:45], v[44:45], v[68:69]
	v_pk_mul_f32 v[68:69], v[110:111], s[2:3] op_sel_hi:[1,0]
	v_mov_b32_e32 v53, v109
	v_pk_add_f32 v[110:111], v[32:33], v[68:69] op_sel:[0,1] op_sel_hi:[1,0] neg_lo:[0,1] neg_hi:[0,1]
	v_pk_add_f32 v[32:33], v[32:33], v[68:69] op_sel:[0,1] op_sel_hi:[1,0]
	v_pk_add_f32 v[68:69], v[110:111], v[70:71] op_sel:[0,1] op_sel_hi:[1,0]
	v_pk_add_f32 v[32:33], v[32:33], v[70:71] op_sel:[0,1] op_sel_hi:[1,0] neg_lo:[0,1] neg_hi:[0,1]
	v_mov_b32_e32 v70, v68
	v_mov_b32_e32 v71, v33
	;; [unrolled: 1-line block ×3, first 2 shown]
	v_pk_fma_f32 v[70:71], v[44:45], s[16:17], v[70:71] op_sel_hi:[1,0,1]
	v_pk_fma_f32 v[32:33], v[44:45], s[16:17], v[32:33] op_sel_hi:[1,0,1]
	ds_write2_b64 v136, v[70:71], v[32:33] offset0:66 offset1:99
	v_pk_fma_f32 v[32:33], v[112:113], s[16:17], v[52:53] op_sel_hi:[1,0,1]
	ds_write_b64 v136, v[32:33] offset:1056
	v_mad_legacy_u16 v32, v73, s3, v122
	v_lshlrev_b32_e32 v138, 3, v32
	s_waitcnt vmcnt(0)
	v_pk_mul_f32 v[32:33], v[58:59], v[40:41] op_sel:[0,1]
	s_nop 0
	v_pk_fma_f32 v[44:45], v[58:59], v[40:41], v[32:33] op_sel:[0,0,1] op_sel_hi:[1,1,0] neg_lo:[0,0,1] neg_hi:[0,0,1]
	v_pk_fma_f32 v[32:33], v[58:59], v[40:41], v[32:33] op_sel:[0,0,1] op_sel_hi:[1,0,0]
	s_nop 0
	v_mov_b32_e32 v32, v43
	v_mov_b32_e32 v45, v33
	v_pk_mul_f32 v[32:33], v[54:55], v[32:33] op_sel_hi:[1,0]
	v_pk_add_f32 v[110:111], v[34:35], v[44:45]
	v_pk_fma_f32 v[52:53], v[54:55], v[42:43], v[32:33] op_sel:[0,0,1] op_sel_hi:[1,1,0] neg_lo:[0,0,1] neg_hi:[0,0,1]
	v_pk_fma_f32 v[32:33], v[54:55], v[42:43], v[32:33] op_sel:[0,0,1] op_sel_hi:[1,0,0]
	s_nop 0
	v_mov_b32_e32 v53, v33
	v_pk_mul_f32 v[32:33], v[50:51], v[36:37] op_sel:[0,1]
	v_pk_add_f32 v[68:69], v[44:45], v[52:53] neg_lo:[0,1] neg_hi:[0,1]
	v_pk_fma_f32 v[54:55], v[50:51], v[36:37], v[32:33] op_sel:[0,0,1] op_sel_hi:[1,1,0] neg_lo:[0,0,1] neg_hi:[0,0,1]
	v_pk_fma_f32 v[32:33], v[50:51], v[36:37], v[32:33] op_sel:[0,0,1] op_sel_hi:[1,0,0]
	v_pk_add_f32 v[110:111], v[110:111], v[52:53]
	v_mov_b32_e32 v32, v39
	v_mov_b32_e32 v55, v33
	v_pk_mul_f32 v[32:33], v[46:47], v[32:33] op_sel_hi:[1,0]
	v_pk_add_f32 v[58:59], v[52:53], v[54:55] neg_lo:[0,1] neg_hi:[0,1]
	v_pk_fma_f32 v[50:51], v[46:47], v[38:39], v[32:33] op_sel:[0,0,1] op_sel_hi:[1,1,0] neg_lo:[0,0,1] neg_hi:[0,0,1]
	v_pk_fma_f32 v[32:33], v[46:47], v[38:39], v[32:33] op_sel:[0,0,1] op_sel_hi:[1,0,0]
	v_pk_add_f32 v[110:111], v[110:111], v[54:55]
	v_mov_b32_e32 v51, v33
	v_pk_add_f32 v[32:33], v[52:53], v[54:55]
	v_pk_add_f32 v[46:47], v[44:45], v[50:51] neg_lo:[0,1] neg_hi:[0,1]
	v_pk_fma_f32 v[32:33], v[32:33], 0.5, v[34:35] op_sel_hi:[1,0,1] neg_lo:[1,0,0] neg_hi:[1,0,0]
	v_pk_add_f32 v[70:71], v[50:51], v[54:55] neg_lo:[0,1] neg_hi:[0,1]
	v_pk_add_f32 v[110:111], v[110:111], v[50:51]
	v_pk_add_f32 v[68:69], v[68:69], v[70:71]
	v_pk_fma_f32 v[70:71], v[46:47], s[2:3], v[32:33] op_sel:[1,0,0] op_sel_hi:[0,0,1] neg_lo:[1,0,0] neg_hi:[1,0,0]
	v_pk_fma_f32 v[32:33], v[46:47], s[2:3], v[32:33] op_sel:[1,0,0] op_sel_hi:[0,0,1]
	v_pk_fma_f32 v[32:33], v[58:59], s[14:15], v[32:33] op_sel:[1,0,0] op_sel_hi:[0,0,1]
	v_pk_fma_f32 v[70:71], v[58:59], s[14:15], v[70:71] op_sel:[1,0,0] op_sel_hi:[0,0,1] neg_lo:[1,0,0] neg_hi:[1,0,0]
	v_mov_b32_e32 v109, v33
	v_mov_b32_e32 v33, v71
	v_pk_fma_f32 v[32:33], v[68:69], s[16:17], v[32:33] op_sel_hi:[1,0,1]
	ds_write2_b64 v138, v[110:111], v[32:33] offset1:33
	v_pk_add_f32 v[32:33], v[44:45], v[50:51]
	v_mov_b32_e32 v108, v70
	v_pk_fma_f32 v[32:33], v[32:33], 0.5, v[34:35] op_sel_hi:[1,0,1] neg_lo:[1,0,0] neg_hi:[1,0,0]
	v_pk_add_f32 v[34:35], v[52:53], v[44:45] neg_lo:[0,1] neg_hi:[0,1]
	v_pk_add_f32 v[44:45], v[54:55], v[50:51] neg_lo:[0,1] neg_hi:[0,1]
	v_pk_fma_f32 v[108:109], v[68:69], s[16:17], v[108:109] op_sel_hi:[1,0,1]
	v_pk_add_f32 v[34:35], v[34:35], v[44:45]
	v_pk_fma_f32 v[44:45], v[58:59], s[2:3], v[32:33] op_sel:[1,0,0] op_sel_hi:[0,0,1]
	v_pk_fma_f32 v[32:33], v[58:59], s[2:3], v[32:33] op_sel:[1,0,0] op_sel_hi:[0,0,1] neg_lo:[1,0,0] neg_hi:[1,0,0]
	v_pk_fma_f32 v[32:33], v[46:47], s[14:15], v[32:33] op_sel:[1,0,0] op_sel_hi:[0,0,1]
	v_pk_fma_f32 v[44:45], v[46:47], s[14:15], v[44:45] op_sel:[1,0,0] op_sel_hi:[0,0,1] neg_lo:[1,0,0] neg_hi:[1,0,0]
	v_mov_b32_e32 v46, v44
	v_mov_b32_e32 v47, v33
	v_mov_b32_e32 v33, v45
	v_pk_fma_f32 v[46:47], v[34:35], s[16:17], v[46:47] op_sel_hi:[1,0,1]
	v_pk_fma_f32 v[32:33], v[34:35], s[16:17], v[32:33] op_sel_hi:[1,0,1]
	ds_write2_b64 v138, v[32:33], v[46:47] offset0:66 offset1:99
	ds_write_b64 v138, v[108:109] offset:1056
	s_and_saveexec_b64 s[2:3], s[0:1]
	s_cbranch_execz .LBB0_9
; %bb.8:
	v_pk_add_f32 v[32:33], v[60:61], v[48:49]
	v_add_u32_e32 v34, 0x3000, v137
	v_pk_add_f32 v[32:33], v[32:33], v[56:57]
	s_nop 0
	v_pk_add_f32 v[32:33], v[32:33], v[62:63]
	s_nop 0
	v_pk_add_f32 v[32:33], v[32:33], v[66:67]
	ds_write2_b64 v34, v[32:33], v[106:107] offset0:114 offset1:147
	ds_write2_b64 v34, v[104:105], v[102:103] offset0:180 offset1:213
	ds_write_b64 v137, v[100:101] offset:14256
.LBB0_9:
	s_or_b64 exec, exec, s[2:3]
	s_movk_i32 s2, 0x50
	v_mov_b64_e32 v[32:33], s[10:11]
	v_mad_u64_u32 v[60:61], s[2:3], v74, s2, v[32:33]
	s_waitcnt lgkmcnt(0)
	s_barrier
	global_load_dwordx4 v[32:35], v[60:61], off offset:1232
	global_load_dwordx4 v[56:59], v[60:61], off offset:1248
	;; [unrolled: 1-line block ×5, first 2 shown]
	ds_read2_b64 v[60:63], v72 offset1:165
	v_add_u32_e32 v64, 0x800, v72
	v_add_u32_e32 v126, 0x1400, v72
	;; [unrolled: 1-line block ×4, first 2 shown]
	ds_read_b64 v[70:71], v72 offset:13200
	ds_read2_b64 v[66:69], v64 offset0:74 offset1:239
	ds_read2_b64 v[108:111], v126 offset0:20 offset1:185
	;; [unrolled: 1-line block ×4, first 2 shown]
	s_mov_b32 s14, 0xbf0a6770
	s_mov_b32 s15, 0x3f575c64
	;; [unrolled: 1-line block ×35, first 2 shown]
	s_waitcnt vmcnt(4) lgkmcnt(5)
	v_pk_mul_f32 v[122:123], v[62:63], v[32:33] op_sel:[1,0] op_sel_hi:[0,1]
	v_mov_b32_e32 v120, v33
	v_mov_b32_e32 v122, v35
	s_waitcnt vmcnt(3) lgkmcnt(3)
	v_pk_mul_f32 v[124:125], v[68:69], v[56:57] op_sel:[0,1]
	v_mov_b32_e32 v134, v59
	s_waitcnt vmcnt(2) lgkmcnt(2)
	v_pk_mul_f32 v[140:141], v[110:111], v[52:53] op_sel:[0,1]
	v_mov_b32_e32 v142, v55
	s_waitcnt vmcnt(1) lgkmcnt(1)
	v_pk_mul_f32 v[144:145], v[114:115], v[44:45] op_sel:[0,1]
	v_mov_b32_e32 v146, v47
	s_waitcnt vmcnt(0) lgkmcnt(0)
	v_pk_mul_f32 v[148:149], v[118:119], v[48:49] op_sel:[0,1]
	v_mov_b32_e32 v150, v51
	v_pk_mul_f32 v[120:121], v[62:63], v[120:121] op_sel:[1,0] op_sel_hi:[0,1]
	v_mov_b32_e32 v152, v123
	v_pk_mul_f32 v[122:123], v[66:67], v[122:123] op_sel_hi:[1,0]
	v_pk_fma_f32 v[154:155], v[68:69], v[56:57], v[124:125] op_sel:[0,0,1] op_sel_hi:[1,1,0] neg_lo:[0,0,1] neg_hi:[0,0,1]
	v_pk_fma_f32 v[68:69], v[68:69], v[56:57], v[124:125] op_sel:[0,0,1] op_sel_hi:[1,0,0]
	v_pk_mul_f32 v[124:125], v[108:109], v[134:135] op_sel_hi:[1,0]
	v_pk_fma_f32 v[134:135], v[110:111], v[52:53], v[140:141] op_sel:[0,0,1] op_sel_hi:[1,1,0] neg_lo:[0,0,1] neg_hi:[0,0,1]
	v_pk_fma_f32 v[110:111], v[110:111], v[52:53], v[140:141] op_sel:[0,0,1] op_sel_hi:[1,0,0]
	;; [unrolled: 3-line block ×4, first 2 shown]
	v_pk_mul_f32 v[148:149], v[70:71], v[150:151] op_sel_hi:[1,0]
	v_pk_fma_f32 v[120:121], v[62:63], v[32:33], v[120:121] neg_lo:[0,0,1] neg_hi:[0,0,1]
	v_pk_fma_f32 v[150:151], v[62:63], v[32:33], v[152:153] op_sel:[1,0,0] op_sel_hi:[0,1,1]
	v_pk_fma_f32 v[152:153], v[66:67], v[34:35], v[122:123] op_sel:[0,0,1] op_sel_hi:[1,1,0] neg_lo:[0,0,1] neg_hi:[0,0,1]
	v_pk_fma_f32 v[62:63], v[66:67], v[34:35], v[122:123] op_sel:[0,0,1] op_sel_hi:[1,0,0]
	v_mov_b32_e32 v155, v69
	v_pk_fma_f32 v[66:67], v[108:109], v[58:59], v[124:125] op_sel:[0,0,1] op_sel_hi:[1,1,0] neg_lo:[0,0,1] neg_hi:[0,0,1]
	v_pk_fma_f32 v[68:69], v[108:109], v[58:59], v[124:125] op_sel:[0,0,1] op_sel_hi:[1,0,0]
	v_mov_b32_e32 v135, v111
	;; [unrolled: 3-line block ×3, first 2 shown]
	v_pk_fma_f32 v[112:113], v[116:117], v[46:47], v[144:145] op_sel:[0,0,1] op_sel_hi:[1,1,0] neg_lo:[0,0,1] neg_hi:[0,0,1]
	v_pk_fma_f32 v[114:115], v[116:117], v[46:47], v[144:145] op_sel:[0,0,1] op_sel_hi:[1,0,0]
	v_pk_fma_f32 v[116:117], v[70:71], v[50:51], v[148:149] op_sel:[0,0,1] op_sel_hi:[1,0,0] neg_lo:[0,0,1] neg_hi:[0,0,1]
	v_mov_b32_e32 v153, v63
	v_mov_b32_e32 v62, v120
	;; [unrolled: 1-line block ×3, first 2 shown]
	v_pk_fma_f32 v[70:71], v[70:71], v[50:51], v[148:149] op_sel:[0,0,1] op_sel_hi:[1,0,0]
	v_mov_b32_e32 v109, v111
	v_mov_b32_e32 v68, v116
	v_pk_add_f32 v[140:141], v[120:121], v[116:117]
	v_mov_b32_e32 v73, v150
	v_pk_add_f32 v[110:111], v[120:121], v[116:117] neg_lo:[0,1] neg_hi:[0,1]
	v_pk_add_f32 v[116:117], v[60:61], v[62:63]
	v_mov_b32_e32 v67, v69
	v_mov_b32_e32 v69, v71
	;; [unrolled: 1-line block ×3, first 2 shown]
	v_pk_add_f32 v[62:63], v[72:73], v[70:71]
	v_pk_add_f32 v[70:71], v[116:117], v[152:153]
	;; [unrolled: 1-line block ×4, first 2 shown]
	v_pk_add_f32 v[120:121], v[66:67], v[142:143] neg_lo:[0,1] neg_hi:[0,1]
	v_pk_add_f32 v[66:67], v[70:71], v[66:67]
	v_mov_b32_e32 v113, v115
	v_pk_add_f32 v[66:67], v[66:67], v[134:135]
	v_mov_b32_e32 v147, v119
	v_pk_add_f32 v[66:67], v[66:67], v[108:109]
	v_pk_add_f32 v[144:145], v[150:151], v[114:115] neg_lo:[0,1] neg_hi:[0,1]
	v_pk_add_f32 v[66:67], v[66:67], v[142:143]
	v_mov_b32_e32 v141, v110
	v_pk_add_f32 v[66:67], v[66:67], v[112:113]
	v_pk_add_f32 v[158:159], v[134:135], v[108:109]
	v_pk_add_f32 v[66:67], v[66:67], v[146:147]
	v_pk_add_f32 v[160:161], v[134:135], v[108:109] neg_lo:[0,1] neg_hi:[0,1]
	v_pk_add_f32 v[134:135], v[66:67], v[68:69]
	v_mov_b32_e32 v62, v144
	v_pk_mul_f32 v[68:69], v[140:141], s[34:35]
	v_pk_add_f32 v[148:149], v[152:153], v[146:147]
	v_pk_fma_f32 v[70:71], v[144:145], s[14:15], v[68:69] neg_lo:[1,0,0] neg_hi:[1,0,0]
	v_pk_fma_f32 v[66:67], v[62:63], s[14:15], v[68:69]
	v_pk_add_f32 v[114:115], v[152:153], v[146:147] neg_lo:[0,1] neg_hi:[0,1]
	v_mov_b32_e32 v71, v67
	v_pk_add_f32 v[150:151], v[154:155], v[112:113]
	v_pk_add_f32 v[118:119], v[154:155], v[112:113] neg_lo:[0,1] neg_hi:[0,1]
	v_pk_add_f32 v[112:113], v[60:61], v[70:71]
	v_mov_b32_e32 v71, v149
	v_mov_b32_e32 v149, v114
	v_mov_b32_e32 v70, v115
	v_pk_mul_f32 v[110:111], v[148:149], s[36:37]
	v_pk_mul_f32 v[182:183], v[148:149], s[2:3]
	v_pk_fma_f32 v[114:115], v[70:71], s[26:27], v[110:111] neg_lo:[1,0,0] neg_hi:[1,0,0]
	v_pk_fma_f32 v[108:109], v[70:71], s[26:27], v[110:111]
	v_pk_fma_f32 v[184:185], v[70:71], s[28:29], v[182:183] neg_lo:[1,0,0] neg_hi:[1,0,0]
	v_mov_b32_e32 v115, v109
	v_pk_add_f32 v[122:123], v[114:115], v[112:113]
	v_mov_b32_e32 v113, v151
	v_mov_b32_e32 v151, v118
	;; [unrolled: 1-line block ×3, first 2 shown]
	v_pk_mul_f32 v[116:117], v[150:151], s[38:39]
	v_pk_fma_f32 v[186:187], v[70:71], s[28:29], v[182:183]
	v_pk_fma_f32 v[118:119], v[112:113], s[10:11], v[116:117] neg_lo:[1,0,0] neg_hi:[1,0,0]
	v_pk_fma_f32 v[114:115], v[112:113], s[10:11], v[116:117]
	v_mov_b32_e32 v185, v187
	v_mov_b32_e32 v119, v115
	v_pk_add_f32 v[124:125], v[118:119], v[122:123]
	v_mov_b32_e32 v119, v157
	v_mov_b32_e32 v157, v120
	;; [unrolled: 1-line block ×3, first 2 shown]
	v_pk_mul_f32 v[122:123], v[156:157], s[40:41]
	v_pk_mul_f32 v[200:201], v[148:149], s[44:45]
	v_pk_fma_f32 v[142:143], v[118:119], s[16:17], v[122:123] neg_lo:[1,0,0] neg_hi:[1,0,0]
	v_pk_fma_f32 v[120:121], v[118:119], s[16:17], v[122:123]
	v_pk_fma_f32 v[202:203], v[70:71], s[24:25], v[200:201] neg_lo:[1,0,0] neg_hi:[1,0,0]
	v_mov_b32_e32 v143, v121
	v_pk_add_f32 v[142:143], v[142:143], v[124:125]
	v_mov_b32_e32 v125, v159
	v_mov_b32_e32 v159, v160
	v_mov_b32_e32 v124, v161
	v_pk_mul_f32 v[146:147], v[158:159], s[30:31]
	v_pk_mul_f32 v[160:161], v[148:149], s[40:41]
	v_pk_fma_f32 v[152:153], v[124:125], s[18:19], v[146:147] neg_lo:[1,0,0] neg_hi:[1,0,0]
	v_pk_fma_f32 v[154:155], v[124:125], s[18:19], v[146:147]
	v_pk_fma_f32 v[162:163], v[70:71], s[16:17], v[160:161] neg_lo:[1,0,0] neg_hi:[1,0,0]
	v_mov_b32_e32 v153, v155
	v_pk_add_f32 v[142:143], v[152:153], v[142:143]
	ds_write2_b64 v72, v[134:135], v[142:143] offset1:165
	v_pk_mul_f32 v[134:135], v[140:141], s[36:37]
	v_pk_fma_f32 v[164:165], v[70:71], s[16:17], v[160:161]
	v_pk_fma_f32 v[142:143], v[144:145], s[26:27], v[134:135] neg_lo:[1,0,0] neg_hi:[1,0,0]
	v_pk_fma_f32 v[152:153], v[62:63], s[26:27], v[134:135]
	v_mov_b32_e32 v163, v165
	v_mov_b32_e32 v143, v153
	v_pk_add_f32 v[142:143], v[60:61], v[142:143]
	v_pk_fma_f32 v[204:205], v[70:71], s[24:25], v[200:201]
	v_pk_add_f32 v[142:143], v[162:163], v[142:143]
	v_pk_mul_f32 v[162:163], v[150:151], s[2:3]
	s_mov_b32 s2, s27
	v_pk_fma_f32 v[166:167], v[112:113], s[28:29], v[162:163] neg_lo:[1,0,0] neg_hi:[1,0,0]
	v_pk_fma_f32 v[168:169], v[112:113], s[28:29], v[162:163]
	s_mov_b32 s3, s22
	v_mov_b32_e32 v167, v169
	v_pk_add_f32 v[142:143], v[166:167], v[142:143]
	v_pk_mul_f32 v[166:167], v[156:157], s[44:45]
	v_mov_b32_e32 v203, v205
	v_pk_fma_f32 v[170:171], v[118:119], s[24:25], v[166:167] neg_lo:[1,0,0] neg_hi:[1,0,0]
	v_pk_fma_f32 v[172:173], v[118:119], s[24:25], v[166:167]
	v_pk_mul_f32 v[148:149], v[148:149], s[42:43]
	v_mov_b32_e32 v171, v173
	v_pk_add_f32 v[142:143], v[170:171], v[142:143]
	v_pk_mul_f32 v[170:171], v[158:159], s[42:43]
	v_pk_fma_f32 v[218:219], v[70:71], s[20:21], v[148:149] neg_lo:[1,0,0] neg_hi:[1,0,0]
	v_pk_fma_f32 v[174:175], v[124:125], s[20:21], v[170:171] neg_lo:[1,0,0] neg_hi:[1,0,0]
	v_pk_fma_f32 v[176:177], v[124:125], s[20:21], v[170:171]
	v_pk_fma_f32 v[220:221], v[70:71], s[20:21], v[148:149]
	v_mov_b32_e32 v175, v177
	v_pk_add_f32 v[142:143], v[174:175], v[142:143]
	v_pk_mul_f32 v[174:175], v[140:141], s[38:39]
	v_mov_b32_e32 v219, v221
	v_pk_fma_f32 v[178:179], v[144:145], s[10:11], v[174:175] neg_lo:[1,0,0] neg_hi:[1,0,0]
	v_pk_fma_f32 v[180:181], v[62:63], s[10:11], v[174:175]
	v_pk_fma_f32 v[148:149], v[70:71], s[20:21], v[148:149] neg_lo:[0,0,1] neg_hi:[0,0,1]
	v_mov_b32_e32 v179, v181
	v_pk_add_f32 v[178:179], v[60:61], v[178:179]
	v_mov_b32_e32 v221, v149
	v_pk_add_f32 v[178:179], v[184:185], v[178:179]
	v_pk_mul_f32 v[184:185], v[150:151], s[2:3]
	v_pk_fma_f32 v[134:135], v[62:63], s[26:27], v[134:135] neg_lo:[0,0,1] neg_hi:[0,0,1]
	v_pk_fma_f32 v[188:189], v[112:113], s[22:23], v[184:185] neg_lo:[1,0,0] neg_hi:[1,0,0]
	v_pk_fma_f32 v[190:191], v[112:113], s[22:23], v[184:185]
	v_mov_b32_e32 v153, v135
	v_mov_b32_e32 v189, v191
	v_pk_add_f32 v[178:179], v[188:189], v[178:179]
	v_pk_mul_f32 v[188:189], v[156:157], s[34:35]
	v_pk_add_f32 v[134:135], v[60:61], v[152:153]
	v_pk_fma_f32 v[192:193], v[118:119], s[14:15], v[188:189] neg_lo:[1,0,0] neg_hi:[1,0,0]
	v_pk_fma_f32 v[194:195], v[118:119], s[14:15], v[188:189]
	v_mov_b32_e32 v73, v65
	v_mov_b32_e32 v193, v195
	v_pk_add_f32 v[178:179], v[192:193], v[178:179]
	v_pk_mul_f32 v[192:193], v[158:159], s[40:41]
	s_nop 0
	v_pk_fma_f32 v[196:197], v[124:125], s[16:17], v[192:193] neg_lo:[1,0,0] neg_hi:[1,0,0]
	v_pk_fma_f32 v[198:199], v[124:125], s[16:17], v[192:193]
	s_nop 0
	v_mov_b32_e32 v197, v199
	v_pk_add_f32 v[178:179], v[196:197], v[178:179]
	ds_write2_b64 v64, v[142:143], v[178:179] offset0:74 offset1:239
	v_pk_mul_f32 v[142:143], v[140:141], s[40:41]
	v_pk_mul_f32 v[140:141], v[140:141], s[30:31]
	v_pk_fma_f32 v[178:179], v[144:145], s[16:17], v[142:143] neg_lo:[1,0,0] neg_hi:[1,0,0]
	v_pk_fma_f32 v[196:197], v[62:63], s[16:17], v[142:143]
	v_pk_fma_f32 v[144:145], v[144:145], s[18:19], v[140:141] neg_lo:[1,0,0] neg_hi:[1,0,0]
	v_mov_b32_e32 v179, v197
	v_pk_add_f32 v[178:179], v[60:61], v[178:179]
	v_pk_fma_f32 v[142:143], v[62:63], s[16:17], v[142:143] neg_lo:[0,0,1] neg_hi:[0,0,1]
	v_pk_add_f32 v[178:179], v[202:203], v[178:179]
	v_pk_mul_f32 v[202:203], v[150:151], s[34:35]
	v_pk_mul_f32 v[150:151], v[150:151], s[40:41]
	v_pk_fma_f32 v[206:207], v[112:113], s[14:15], v[202:203] neg_lo:[1,0,0] neg_hi:[1,0,0]
	v_pk_fma_f32 v[208:209], v[112:113], s[14:15], v[202:203]
	v_pk_fma_f32 v[222:223], v[112:113], s[16:17], v[150:151]
	v_mov_b32_e32 v207, v209
	v_pk_add_f32 v[178:179], v[206:207], v[178:179]
	v_pk_mul_f32 v[206:207], v[156:157], s[30:31]
	v_pk_mul_f32 v[156:157], v[156:157], s[2:3]
	v_pk_fma_f32 v[210:211], v[118:119], s[18:19], v[206:207] neg_lo:[1,0,0] neg_hi:[1,0,0]
	v_pk_fma_f32 v[212:213], v[118:119], s[18:19], v[206:207]
	v_pk_fma_f32 v[224:225], v[118:119], s[22:23], v[156:157]
	v_mov_b32_e32 v211, v213
	v_pk_add_f32 v[178:179], v[210:211], v[178:179]
	v_pk_mul_f32 v[210:211], v[158:159], s[2:3]
	v_pk_fma_f32 v[148:149], v[112:113], s[16:17], v[150:151] neg_lo:[0,0,1] neg_hi:[0,0,1]
	v_pk_fma_f32 v[214:215], v[124:125], s[22:23], v[210:211] neg_lo:[1,0,0] neg_hi:[1,0,0]
	v_pk_fma_f32 v[216:217], v[124:125], s[22:23], v[210:211]
	v_pk_mul_f32 v[158:159], v[158:159], s[38:39]
	v_mov_b32_e32 v215, v217
	v_pk_add_f32 v[178:179], v[214:215], v[178:179]
	v_pk_fma_f32 v[214:215], v[62:63], s[18:19], v[140:141]
	v_pk_fma_f32 v[226:227], v[124:125], s[10:11], v[158:159]
	v_mov_b32_e32 v145, v215
	v_pk_add_f32 v[144:145], v[60:61], v[144:145]
	v_pk_fma_f32 v[140:141], v[62:63], s[18:19], v[140:141] neg_lo:[0,0,1] neg_hi:[0,0,1]
	v_pk_add_f32 v[144:145], v[218:219], v[144:145]
	v_pk_fma_f32 v[218:219], v[112:113], s[16:17], v[150:151] neg_lo:[1,0,0] neg_hi:[1,0,0]
	v_mov_b32_e32 v215, v141
	v_mov_b32_e32 v219, v223
	v_pk_add_f32 v[144:145], v[218:219], v[144:145]
	v_pk_fma_f32 v[218:219], v[118:119], s[22:23], v[156:157] neg_lo:[1,0,0] neg_hi:[1,0,0]
	v_mov_b32_e32 v223, v149
	v_mov_b32_e32 v219, v225
	v_pk_fma_f32 v[148:149], v[118:119], s[22:23], v[156:157] neg_lo:[0,0,1] neg_hi:[0,0,1]
	v_pk_add_f32 v[144:145], v[218:219], v[144:145]
	v_pk_fma_f32 v[218:219], v[124:125], s[10:11], v[158:159] neg_lo:[1,0,0] neg_hi:[1,0,0]
	v_mov_b32_e32 v225, v149
	v_pk_fma_f32 v[148:149], v[124:125], s[10:11], v[158:159] neg_lo:[0,0,1] neg_hi:[0,0,1]
	v_mov_b32_e32 v219, v227
	v_mov_b32_e32 v227, v149
	;; [unrolled: 1-line block ×3, first 2 shown]
	v_pk_fma_f32 v[148:149], v[70:71], s[24:25], v[200:201] neg_lo:[0,0,1] neg_hi:[0,0,1]
	v_pk_add_f32 v[140:141], v[60:61], v[214:215]
	v_pk_add_f32 v[142:143], v[60:61], v[196:197]
	v_mov_b32_e32 v205, v149
	v_pk_fma_f32 v[148:149], v[112:113], s[14:15], v[202:203] neg_lo:[0,0,1] neg_hi:[0,0,1]
	v_pk_add_f32 v[140:141], v[220:221], v[140:141]
	v_pk_add_f32 v[142:143], v[204:205], v[142:143]
	v_mov_b32_e32 v209, v149
	;; [unrolled: 4-line block ×4, first 2 shown]
	v_pk_add_f32 v[140:141], v[226:227], v[140:141]
	v_pk_add_f32 v[142:143], v[216:217], v[142:143]
	ds_write2_b64 v127, v[140:141], v[142:143] offset0:30 offset1:195
	v_pk_fma_f32 v[142:143], v[70:71], s[28:29], v[182:183] neg_lo:[0,0,1] neg_hi:[0,0,1]
	v_pk_fma_f32 v[140:141], v[62:63], s[10:11], v[174:175] neg_lo:[0,0,1] neg_hi:[0,0,1]
	v_mov_b32_e32 v187, v143
	v_pk_fma_f32 v[142:143], v[112:113], s[22:23], v[184:185] neg_lo:[0,0,1] neg_hi:[0,0,1]
	v_pk_fma_f32 v[62:63], v[62:63], s[14:15], v[68:69] neg_lo:[0,0,1] neg_hi:[0,0,1]
	v_mov_b32_e32 v181, v141
	v_mov_b32_e32 v191, v143
	v_pk_fma_f32 v[142:143], v[118:119], s[14:15], v[188:189] neg_lo:[0,0,1] neg_hi:[0,0,1]
	v_mov_b32_e32 v67, v63
	v_pk_fma_f32 v[62:63], v[70:71], s[26:27], v[110:111] neg_lo:[0,0,1] neg_hi:[0,0,1]
	v_pk_add_f32 v[140:141], v[60:61], v[180:181]
	v_mov_b32_e32 v195, v143
	v_pk_fma_f32 v[142:143], v[124:125], s[16:17], v[192:193] neg_lo:[0,0,1] neg_hi:[0,0,1]
	v_pk_add_f32 v[60:61], v[60:61], v[66:67]
	v_mov_b32_e32 v109, v63
	v_pk_fma_f32 v[62:63], v[112:113], s[10:11], v[116:117] neg_lo:[0,0,1] neg_hi:[0,0,1]
	v_mov_b32_e32 v199, v143
	v_pk_fma_f32 v[142:143], v[70:71], s[16:17], v[160:161] neg_lo:[0,0,1] neg_hi:[0,0,1]
	v_pk_add_f32 v[60:61], v[108:109], v[60:61]
	v_mov_b32_e32 v115, v63
	v_pk_fma_f32 v[62:63], v[118:119], s[16:17], v[122:123] neg_lo:[0,0,1] neg_hi:[0,0,1]
	v_mov_b32_e32 v165, v143
	v_pk_fma_f32 v[142:143], v[112:113], s[28:29], v[162:163] neg_lo:[0,0,1] neg_hi:[0,0,1]
	v_pk_add_f32 v[60:61], v[114:115], v[60:61]
	v_mov_b32_e32 v121, v63
	v_pk_fma_f32 v[62:63], v[124:125], s[18:19], v[146:147] neg_lo:[0,0,1] neg_hi:[0,0,1]
	v_pk_add_f32 v[144:145], v[218:219], v[144:145]
	v_pk_add_f32 v[140:141], v[186:187], v[140:141]
	;; [unrolled: 1-line block ×3, first 2 shown]
	v_mov_b32_e32 v169, v143
	v_pk_fma_f32 v[142:143], v[118:119], s[24:25], v[166:167] neg_lo:[0,0,1] neg_hi:[0,0,1]
	v_pk_add_f32 v[60:61], v[120:121], v[60:61]
	v_mov_b32_e32 v155, v63
	ds_write2_b64 v126, v[178:179], v[144:145] offset0:20 offset1:185
	v_lshl_add_u64 v[144:145], s[8:9], 0, v[72:73]
	v_pk_add_f32 v[140:141], v[190:191], v[140:141]
	v_pk_add_f32 v[134:135], v[168:169], v[134:135]
	v_mov_b32_e32 v173, v143
	v_pk_fma_f32 v[142:143], v[124:125], s[20:21], v[170:171] neg_lo:[0,0,1] neg_hi:[0,0,1]
	v_pk_add_f32 v[60:61], v[154:155], v[60:61]
	s_movk_i32 s2, 0x3000
	v_pk_add_f32 v[140:141], v[194:195], v[140:141]
	v_pk_add_f32 v[134:135], v[172:173], v[134:135]
	v_mov_b32_e32 v177, v143
	ds_write_b64 v72, v[60:61] offset:13200
	v_add_co_u32_e64 v60, s[2:3], s2, v144
	v_pk_add_f32 v[140:141], v[198:199], v[140:141]
	v_pk_add_f32 v[134:135], v[176:177], v[134:135]
	v_addc_co_u32_e64 v61, s[2:3], 0, v145, s[2:3]
	ds_write2_b64 v128, v[140:141], v[134:135] offset0:40 offset1:205
	s_waitcnt lgkmcnt(0)
	s_barrier
	global_load_dwordx2 v[66:67], v[60:61], off offset:2232
	s_mov_b64 s[2:3], 0x38b8
	v_lshl_add_u64 v[60:61], v[144:145], 0, s[2:3]
	global_load_dwordx2 v[68:69], v[60:61], off offset:1320
	global_load_dwordx2 v[70:71], v[60:61], off offset:2640
	;; [unrolled: 1-line block ×3, first 2 shown]
	s_movk_i32 s2, 0x4000
	v_add_co_u32_e64 v60, s[2:3], s2, v144
	s_mov_b32 s8, s17
	s_nop 0
	v_addc_co_u32_e64 v61, s[2:3], 0, v145, s[2:3]
	global_load_dwordx2 v[120:121], v[60:61], off offset:3416
	s_movk_i32 s2, 0x5000
	v_add_co_u32_e64 v60, s[2:3], s2, v144
	v_mov_b32_e32 v116, v12
	s_nop 0
	v_addc_co_u32_e64 v61, s[2:3], 0, v145, s[2:3]
	global_load_dwordx2 v[122:123], v[60:61], off offset:640
	global_load_dwordx2 v[124:125], v[60:61], off offset:1960
	;; [unrolled: 1-line block ×3, first 2 shown]
	s_movk_i32 s2, 0x6000
	v_add_co_u32_e64 v60, s[2:3], s2, v144
	v_mov_b32_e32 v117, v12
	s_nop 0
	v_addc_co_u32_e64 v61, s[2:3], 0, v145, s[2:3]
	global_load_dwordx2 v[140:141], v[60:61], off offset:504
	global_load_dwordx2 v[142:143], v[60:61], off offset:1824
	;; [unrolled: 1-line block ×3, first 2 shown]
	ds_read2_b64 v[60:63], v72 offset1:165
	s_mov_b32 s2, s27
	v_mov_b32_e32 v12, v13
	v_mov_b32_e32 v114, v14
	;; [unrolled: 1-line block ×10, first 2 shown]
	s_waitcnt vmcnt(10) lgkmcnt(0)
	v_mul_f32_e32 v65, v61, v67
	v_mul_f32_e32 v109, v60, v67
	v_fma_f32 v108, v60, v66, -v65
	v_fmac_f32_e32 v109, v61, v66
	s_waitcnt vmcnt(9)
	v_mul_f32_e32 v60, v63, v69
	v_mul_f32_e32 v61, v62, v69
	v_fma_f32 v60, v62, v68, -v60
	v_fmac_f32_e32 v61, v63, v68
	ds_write2_b64 v72, v[108:109], v[60:61] offset1:165
	ds_read2_b64 v[60:63], v64 offset0:74 offset1:239
	ds_read2_b64 v[66:69], v126 offset0:20 offset1:185
	v_mov_b32_e32 v108, v20
	v_mov_b32_e32 v109, v20
	s_waitcnt vmcnt(8) lgkmcnt(1)
	v_mul_f32_e32 v20, v61, v71
	v_mul_f32_e32 v147, v60, v71
	v_fma_f32 v146, v60, v70, -v20
	v_fmac_f32_e32 v147, v61, v70
	s_waitcnt vmcnt(7)
	v_mul_f32_e32 v20, v63, v119
	v_mul_f32_e32 v61, v62, v119
	v_fma_f32 v60, v62, v118, -v20
	v_fmac_f32_e32 v61, v63, v118
	ds_write2_b64 v64, v[146:147], v[60:61] offset0:74 offset1:239
	ds_read2_b64 v[60:63], v127 offset0:30 offset1:195
	s_waitcnt vmcnt(6) lgkmcnt(2)
	v_mul_f32_e32 v20, v67, v121
	v_mul_f32_e32 v71, v66, v121
	v_fma_f32 v70, v66, v120, -v20
	v_fmac_f32_e32 v71, v67, v120
	s_waitcnt vmcnt(5)
	v_mul_f32_e32 v20, v69, v123
	v_mul_f32_e32 v67, v68, v123
	v_fma_f32 v66, v68, v122, -v20
	v_fmac_f32_e32 v67, v69, v122
	ds_write2_b64 v126, v[70:71], v[66:67] offset0:20 offset1:185
	ds_read2_b64 v[66:69], v128 offset0:40 offset1:205
	s_waitcnt vmcnt(4) lgkmcnt(2)
	v_mul_f32_e32 v20, v61, v125
	v_mul_f32_e32 v71, v60, v125
	v_fma_f32 v70, v60, v124, -v20
	v_fmac_f32_e32 v71, v61, v124
	s_waitcnt vmcnt(3)
	v_mul_f32_e32 v20, v63, v135
	v_mul_f32_e32 v61, v62, v135
	v_fma_f32 v60, v62, v134, -v20
	v_fmac_f32_e32 v61, v63, v134
	ds_read_b64 v[62:63], v72 offset:13200
	ds_write2_b64 v127, v[70:71], v[60:61] offset0:30 offset1:195
	s_waitcnt vmcnt(2) lgkmcnt(2)
	v_mul_f32_e32 v20, v67, v141
	v_mul_f32_e32 v61, v66, v141
	v_fma_f32 v60, v66, v140, -v20
	v_fmac_f32_e32 v61, v67, v140
	s_waitcnt vmcnt(1)
	v_mul_f32_e32 v20, v69, v143
	v_mul_f32_e32 v67, v68, v143
	v_fma_f32 v66, v68, v142, -v20
	v_fmac_f32_e32 v67, v69, v142
	ds_write2_b64 v128, v[60:61], v[66:67] offset0:40 offset1:205
	s_waitcnt vmcnt(0) lgkmcnt(2)
	v_mul_f32_e32 v20, v63, v145
	v_mul_f32_e32 v61, v62, v145
	v_fma_f32 v60, v62, v144, -v20
	v_fmac_f32_e32 v61, v63, v144
	ds_write_b64 v72, v[60:61] offset:13200
	s_waitcnt lgkmcnt(0)
	s_barrier
	ds_read2_b64 v[60:63], v72 offset1:165
	ds_read2_b64 v[64:67], v64 offset0:74 offset1:239
	ds_read2_b64 v[68:71], v126 offset0:20 offset1:185
	;; [unrolled: 1-line block ×4, first 2 shown]
	ds_read_b64 v[126:127], v72 offset:13200
	s_waitcnt lgkmcnt(5)
	v_pk_add_f32 v[128:129], v[60:61], v[62:63]
	s_waitcnt lgkmcnt(0)
	v_pk_add_f32 v[128:129], v[128:129], v[64:65]
	v_pk_add_f32 v[144:145], v[124:125], v[64:65]
	;; [unrolled: 1-line block ×5, first 2 shown]
	v_pk_add_f32 v[62:63], v[62:63], v[126:127] neg_lo:[0,1] neg_hi:[0,1]
	v_pk_add_f32 v[128:129], v[128:129], v[70:71]
	v_pk_add_f32 v[64:65], v[64:65], v[124:125] neg_lo:[0,1] neg_hi:[0,1]
	v_pk_add_f32 v[128:129], v[128:129], v[118:119]
	v_mov_b32_e32 v164, v134
	v_pk_add_f32 v[128:129], v[128:129], v[120:121]
	v_mov_b32_e32 v165, v62
	v_pk_add_f32 v[128:129], v[128:129], v[122:123]
	v_pk_add_f32 v[150:151], v[122:123], v[66:67]
	;; [unrolled: 1-line block ×3, first 2 shown]
	v_pk_mul_f32 v[124:125], v[64:65], s[16:17] op_sel_hi:[1,0]
	v_pk_add_f32 v[128:129], v[128:129], v[126:127]
	v_pk_mul_f32 v[126:127], v[62:63], s[26:27] op_sel_hi:[1,0]
	v_pk_fma_f32 v[146:147], v[144:145], s[8:9], v[124:125] op_sel:[0,0,1] op_sel_hi:[1,0,0]
	v_pk_fma_f32 v[140:141], v[134:135], s[2:3], v[126:127] op_sel:[0,0,1] op_sel_hi:[1,0,0]
	v_pk_fma_f32 v[126:127], v[134:135], s[2:3], v[126:127] op_sel:[0,0,1] op_sel_hi:[1,0,0] neg_lo:[0,0,1] neg_hi:[0,0,1]
	v_pk_fma_f32 v[124:125], v[144:145], s[8:9], v[124:125] op_sel:[0,0,1] op_sel_hi:[1,0,0] neg_lo:[0,0,1] neg_hi:[0,0,1]
	v_mov_b32_e32 v143, v127
	v_pk_add_f32 v[66:67], v[66:67], v[122:123] neg_lo:[0,1] neg_hi:[0,1]
	v_mov_b32_e32 v162, v63
	v_mov_b32_e32 v163, v135
	v_pk_mul_f32 v[164:165], v[164:165], s[34:35]
	v_mov_b32_e32 v172, v144
	v_mov_b32_e32 v173, v64
	;; [unrolled: 1-line block ×5, first 2 shown]
	v_pk_fma_f32 v[166:167], v[162:163], s[14:15], v[164:165] neg_lo:[1,0,0] neg_hi:[1,0,0]
	v_pk_fma_f32 v[168:169], v[162:163], s[14:15], v[164:165]
	v_mov_b32_e32 v170, v65
	v_mov_b32_e32 v171, v145
	v_pk_mul_f32 v[172:173], v[172:173], s[36:37]
	v_mov_b32_e32 v125, v147
	v_pk_add_f32 v[126:127], v[60:61], v[126:127]
	v_mov_b32_e32 v140, v150
	v_mov_b32_e32 v141, v66
	;; [unrolled: 1-line block ×3, first 2 shown]
	v_pk_mul_f32 v[122:123], v[66:67], s[28:29] op_sel_hi:[1,0]
	v_mov_b32_e32 v167, v169
	v_pk_add_f32 v[142:143], v[60:61], v[142:143]
	v_pk_fma_f32 v[174:175], v[170:171], s[26:27], v[172:173] neg_lo:[1,0,0] neg_hi:[1,0,0]
	v_pk_fma_f32 v[176:177], v[170:171], s[26:27], v[172:173]
	v_pk_add_f32 v[124:125], v[124:125], v[126:127]
	v_mov_b32_e32 v126, v67
	v_mov_b32_e32 v127, v151
	v_pk_mul_f32 v[140:141], v[140:141], s[38:39]
	v_pk_fma_f32 v[152:153], v[150:151], s[46:47], v[122:123] op_sel:[0,0,1] op_sel_hi:[1,0,0]
	v_pk_fma_f32 v[122:123], v[150:151], s[46:47], v[122:123] op_sel:[0,0,1] op_sel_hi:[1,0,0] neg_lo:[0,0,1] neg_hi:[0,0,1]
	v_pk_add_f32 v[156:157], v[120:121], v[68:69]
	v_pk_add_f32 v[68:69], v[68:69], v[120:121] neg_lo:[0,1] neg_hi:[0,1]
	v_pk_add_f32 v[166:167], v[60:61], v[166:167]
	v_mov_b32_e32 v175, v177
	v_pk_add_f32 v[142:143], v[148:149], v[142:143]
	v_pk_fma_f32 v[146:147], v[126:127], s[10:11], v[140:141] neg_lo:[1,0,0] neg_hi:[1,0,0]
	v_pk_fma_f32 v[148:149], v[126:127], s[10:11], v[140:141]
	v_mov_b32_e32 v155, v123
	v_pk_mul_f32 v[120:121], v[68:69], s[24:25] op_sel_hi:[1,0]
	v_pk_add_f32 v[166:167], v[174:175], v[166:167]
	v_mov_b32_e32 v147, v149
	v_mov_b32_e32 v123, v153
	;; [unrolled: 1-line block ×3, first 2 shown]
	v_pk_fma_f32 v[158:159], v[156:157], s[44:45], v[120:121] op_sel:[0,0,1] op_sel_hi:[1,0,0]
	v_pk_fma_f32 v[120:121], v[156:157], s[44:45], v[120:121] op_sel:[0,0,1] op_sel_hi:[1,0,0] neg_lo:[0,0,1] neg_hi:[0,0,1]
	v_pk_add_f32 v[146:147], v[146:147], v[166:167]
	v_mov_b32_e32 v166, v156
	v_mov_b32_e32 v167, v68
	v_pk_add_f32 v[122:123], v[122:123], v[124:125]
	v_pk_fma_f32 v[124:125], v[170:171], s[26:27], v[172:173] neg_lo:[0,0,1] neg_hi:[0,0,1]
	v_mov_b32_e32 v161, v121
	v_pk_add_f32 v[142:143], v[154:155], v[142:143]
	v_mov_b32_e32 v154, v69
	v_mov_b32_e32 v155, v157
	v_pk_mul_f32 v[166:167], v[166:167], s[40:41]
	v_mov_b32_e32 v121, v159
	v_mov_b32_e32 v177, v125
	v_pk_fma_f32 v[124:125], v[126:127], s[10:11], v[140:141] neg_lo:[0,0,1] neg_hi:[0,0,1]
	v_pk_fma_f32 v[174:175], v[154:155], s[16:17], v[166:167] neg_lo:[1,0,0] neg_hi:[1,0,0]
	v_pk_fma_f32 v[178:179], v[154:155], s[16:17], v[166:167]
	v_pk_add_f32 v[120:121], v[120:121], v[122:123]
	v_pk_fma_f32 v[122:123], v[162:163], s[14:15], v[164:165] neg_lo:[0,0,1] neg_hi:[0,0,1]
	v_mov_b32_e32 v149, v125
	v_pk_fma_f32 v[124:125], v[154:155], s[16:17], v[166:167] neg_lo:[0,0,1] neg_hi:[0,0,1]
	v_mov_b32_e32 v175, v179
	v_mov_b32_e32 v169, v123
	;; [unrolled: 1-line block ×3, first 2 shown]
	v_pk_add_f32 v[124:125], v[118:119], v[70:71]
	v_pk_add_f32 v[70:71], v[70:71], v[118:119] neg_lo:[0,1] neg_hi:[0,1]
	v_pk_add_f32 v[122:123], v[60:61], v[168:169]
	v_mov_b32_e32 v118, v124
	v_mov_b32_e32 v119, v70
	v_pk_add_f32 v[122:123], v[176:177], v[122:123]
	v_mov_b32_e32 v126, v71
	v_mov_b32_e32 v127, v125
	v_pk_mul_f32 v[140:141], v[118:119], s[30:31]
	v_pk_mul_f32 v[154:155], v[118:119], s[42:43]
	v_pk_mul_f32 v[118:119], v[70:71], s[16:17] op_sel_hi:[1,0]
	v_pk_add_f32 v[122:123], v[148:149], v[122:123]
	v_pk_fma_f32 v[148:149], v[126:127], s[18:19], v[140:141] neg_lo:[1,0,0] neg_hi:[1,0,0]
	v_pk_fma_f32 v[152:153], v[126:127], s[18:19], v[140:141]
	v_pk_fma_f32 v[162:163], v[124:125], s[8:9], v[118:119] op_sel:[0,0,1] op_sel_hi:[1,0,0]
	v_pk_fma_f32 v[164:165], v[124:125], s[8:9], v[118:119] op_sel:[0,0,1] op_sel_hi:[1,0,0] neg_lo:[0,0,1] neg_hi:[0,0,1]
	v_pk_fma_f32 v[118:119], v[126:127], s[18:19], v[140:141] neg_lo:[0,0,1] neg_hi:[0,0,1]
	v_mov_b32_e32 v149, v153
	v_mov_b32_e32 v153, v119
	v_pk_mul_f32 v[118:119], v[62:63], s[10:11] op_sel_hi:[1,0]
	v_pk_mul_f32 v[170:171], v[64:65], s[28:29] op_sel_hi:[1,0]
	v_pk_fma_f32 v[140:141], v[134:135], s[44:45], v[118:119] op_sel:[0,0,1] op_sel_hi:[1,0,0]
	v_pk_fma_f32 v[168:169], v[134:135], s[44:45], v[118:119] op_sel:[0,0,1] op_sel_hi:[1,0,0] neg_lo:[0,0,1] neg_hi:[0,0,1]
	v_mov_b32_e32 v118, v140
	v_mov_b32_e32 v119, v169
	v_pk_fma_f32 v[172:173], v[144:145], s[46:47], v[170:171] op_sel:[0,0,1] op_sel_hi:[1,0,0]
	v_pk_fma_f32 v[170:171], v[144:145], s[46:47], v[170:171] op_sel:[0,0,1] op_sel_hi:[1,0,0] neg_lo:[0,0,1] neg_hi:[0,0,1]
	v_pk_mul_f32 v[176:177], v[66:67], s[22:23] op_sel_hi:[1,0]
	v_pk_add_f32 v[146:147], v[174:175], v[146:147]
	v_pk_add_f32 v[122:123], v[178:179], v[122:123]
	v_mov_b32_e32 v174, v172
	v_mov_b32_e32 v175, v171
	v_pk_fma_f32 v[178:179], v[150:151], s[2:3], v[176:177] op_sel:[0,0,1] op_sel_hi:[1,0,0]
	v_pk_fma_f32 v[176:177], v[150:151], s[2:3], v[176:177] op_sel:[0,0,1] op_sel_hi:[1,0,0] neg_lo:[0,0,1] neg_hi:[0,0,1]
	s_mov_b32 s26, s15
	v_pk_mul_f32 v[182:183], v[68:69], s[14:15] op_sel_hi:[1,0]
	v_pk_add_f32 v[118:119], v[60:61], v[118:119]
	v_mov_b32_e32 v160, v158
	v_mov_b32_e32 v180, v178
	;; [unrolled: 1-line block ×3, first 2 shown]
	v_pk_fma_f32 v[184:185], v[156:157], s[26:27], v[182:183] op_sel:[0,0,1] op_sel_hi:[1,0,0]
	v_pk_fma_f32 v[182:183], v[156:157], s[26:27], v[182:183] op_sel:[0,0,1] op_sel_hi:[1,0,0] neg_lo:[0,0,1] neg_hi:[0,0,1]
	v_pk_add_f32 v[118:119], v[174:175], v[118:119]
	v_pk_add_f32 v[142:143], v[160:161], v[142:143]
	v_pk_fma_f32 v[158:159], v[126:127], s[20:21], v[154:155] neg_lo:[1,0,0] neg_hi:[1,0,0]
	v_pk_fma_f32 v[160:161], v[126:127], s[20:21], v[154:155]
	v_mov_b32_e32 v186, v184
	v_mov_b32_e32 v187, v183
	v_pk_add_f32 v[118:119], v[180:181], v[118:119]
	v_pk_fma_f32 v[126:127], v[126:127], s[20:21], v[154:155] neg_lo:[0,0,1] neg_hi:[0,0,1]
	v_mov_b32_e32 v159, v161
	v_mov_b32_e32 v166, v162
	v_mov_b32_e32 v167, v165
	v_pk_add_f32 v[174:175], v[186:187], v[118:119]
	v_mov_b32_e32 v161, v127
	v_pk_add_f32 v[122:123], v[152:153], v[122:123]
	s_barrier
	v_pk_add_f32 v[126:127], v[160:161], v[142:143]
	v_pk_add_f32 v[142:143], v[166:167], v[174:175]
	ds_write2_b64 v83, v[128:129], v[122:123] offset1:1
	ds_write2_b64 v83, v[126:127], v[142:143] offset0:2 offset1:3
	v_pk_mul_f32 v[122:123], v[62:63], s[16:17] op_sel_hi:[1,0]
	v_pk_mul_f32 v[142:143], v[64:65], s[24:25] op_sel_hi:[1,0]
	v_pk_fma_f32 v[126:127], v[134:135], s[8:9], v[122:123] op_sel:[0,0,1] op_sel_hi:[1,0,0]
	v_pk_fma_f32 v[122:123], v[134:135], s[8:9], v[122:123] op_sel:[0,0,1] op_sel_hi:[1,0,0] neg_lo:[0,0,1] neg_hi:[0,0,1]
	v_pk_add_f32 v[118:119], v[148:149], v[146:147]
	v_mov_b32_e32 v128, v126
	v_mov_b32_e32 v129, v123
	v_pk_fma_f32 v[146:147], v[144:145], s[44:45], v[142:143] op_sel:[0,0,1] op_sel_hi:[1,0,0]
	v_pk_fma_f32 v[142:143], v[144:145], s[44:45], v[142:143] op_sel:[0,0,1] op_sel_hi:[1,0,0] neg_lo:[0,0,1] neg_hi:[0,0,1]
	v_pk_mul_f32 v[152:153], v[66:67], s[14:15] op_sel_hi:[1,0]
	v_mov_b32_e32 v148, v146
	v_mov_b32_e32 v149, v143
	v_pk_fma_f32 v[154:155], v[150:151], s[26:27], v[152:153] op_sel:[0,0,1] op_sel_hi:[1,0,0]
	v_pk_fma_f32 v[152:153], v[150:151], s[26:27], v[152:153] op_sel:[0,0,1] op_sel_hi:[1,0,0] neg_lo:[0,0,1] neg_hi:[0,0,1]
	v_pk_mul_f32 v[160:161], v[68:69], s[18:19] op_sel_hi:[1,0]
	v_pk_add_f32 v[128:129], v[60:61], v[128:129]
	v_pk_add_f32 v[120:121], v[158:159], v[120:121]
	v_mov_b32_e32 v158, v154
	v_mov_b32_e32 v159, v153
	v_pk_fma_f32 v[166:167], v[156:157], s[46:47], v[160:161] op_sel:[0,0,1] op_sel_hi:[1,0,0]
	v_pk_fma_f32 v[160:161], v[156:157], s[46:47], v[160:161] op_sel:[0,0,1] op_sel_hi:[1,0,0] neg_lo:[0,0,1] neg_hi:[0,0,1]
	v_pk_add_f32 v[128:129], v[148:149], v[128:129]
	v_pk_mul_f32 v[148:149], v[70:71], s[22:23] op_sel_hi:[1,0]
	v_mov_b32_e32 v174, v166
	v_mov_b32_e32 v175, v161
	v_pk_add_f32 v[128:129], v[158:159], v[128:129]
	v_pk_fma_f32 v[158:159], v[124:125], s[2:3], v[148:149] op_sel:[0,0,1] op_sel_hi:[1,0,0]
	v_pk_fma_f32 v[148:149], v[124:125], s[2:3], v[148:149] op_sel:[0,0,1] op_sel_hi:[1,0,0] neg_lo:[0,0,1] neg_hi:[0,0,1]
	v_pk_add_f32 v[128:129], v[174:175], v[128:129]
	v_mov_b32_e32 v174, v158
	v_mov_b32_e32 v175, v149
	v_pk_mul_f32 v[62:63], v[62:63], s[18:19] op_sel_hi:[1,0]
	v_pk_add_f32 v[128:129], v[174:175], v[128:129]
	v_pk_fma_f32 v[174:175], v[134:135], s[46:47], v[62:63] op_sel:[0,0,1] op_sel_hi:[1,0,0]
	v_pk_fma_f32 v[62:63], v[134:135], s[46:47], v[62:63] op_sel:[0,0,1] op_sel_hi:[1,0,0] neg_lo:[0,0,1] neg_hi:[0,0,1]
	v_pk_mul_f32 v[64:65], v[64:65], s[20:21] op_sel_hi:[1,0]
	v_mov_b32_e32 v135, v63
	v_pk_fma_f32 v[180:181], v[144:145], s[26:27], v[64:65] op_sel:[0,0,1] op_sel_hi:[1,0,0]
	v_pk_fma_f32 v[64:65], v[144:145], s[26:27], v[64:65] op_sel:[0,0,1] op_sel_hi:[1,0,0] neg_lo:[0,0,1] neg_hi:[0,0,1]
	v_mov_b32_e32 v63, v175
	v_mov_b32_e32 v134, v174
	v_mov_b32_e32 v145, v65
	v_pk_mul_f32 v[66:67], v[66:67], s[16:17] op_sel_hi:[1,0]
	v_mov_b32_e32 v65, v181
	v_pk_add_f32 v[62:63], v[60:61], v[62:63]
	v_mov_b32_e32 v123, v127
	v_mov_b32_e32 v169, v141
	;; [unrolled: 1-line block ×3, first 2 shown]
	v_pk_fma_f32 v[186:187], v[150:151], s[8:9], v[66:67] op_sel:[0,0,1] op_sel_hi:[1,0,0]
	v_pk_fma_f32 v[66:67], v[150:151], s[8:9], v[66:67] op_sel:[0,0,1] op_sel_hi:[1,0,0] neg_lo:[0,0,1] neg_hi:[0,0,1]
	v_pk_mul_f32 v[68:69], v[68:69], s[22:23] op_sel_hi:[1,0]
	v_pk_add_f32 v[134:135], v[60:61], v[134:135]
	v_pk_add_f32 v[62:63], v[64:65], v[62:63]
	v_mov_b32_e32 v143, v147
	v_pk_add_f32 v[64:65], v[60:61], v[122:123]
	v_mov_b32_e32 v171, v173
	;; [unrolled: 2-line block ×3, first 2 shown]
	v_mov_b32_e32 v151, v67
	v_pk_fma_f32 v[188:189], v[156:157], s[2:3], v[68:69] op_sel:[0,0,1] op_sel_hi:[1,0,0]
	v_pk_fma_f32 v[68:69], v[156:157], s[2:3], v[68:69] op_sel:[0,0,1] op_sel_hi:[1,0,0] neg_lo:[0,0,1] neg_hi:[0,0,1]
	v_pk_add_f32 v[134:135], v[144:145], v[134:135]
	v_pk_mul_f32 v[70:71], v[70:71], s[10:11] op_sel_hi:[1,0]
	v_mov_b32_e32 v67, v187
	v_mov_b32_e32 v153, v155
	v_pk_add_f32 v[64:65], v[142:143], v[64:65]
	v_mov_b32_e32 v177, v179
	v_pk_add_f32 v[60:61], v[170:171], v[60:61]
	v_mov_b32_e32 v156, v188
	v_mov_b32_e32 v157, v69
	v_pk_add_f32 v[134:135], v[150:151], v[134:135]
	v_pk_fma_f32 v[144:145], v[124:125], s[44:45], v[70:71] op_sel:[0,0,1] op_sel_hi:[1,0,0]
	v_pk_fma_f32 v[70:71], v[124:125], s[44:45], v[70:71] op_sel:[0,0,1] op_sel_hi:[1,0,0] neg_lo:[0,0,1] neg_hi:[0,0,1]
	v_mov_b32_e32 v69, v189
	v_pk_add_f32 v[62:63], v[66:67], v[62:63]
	v_mov_b32_e32 v161, v167
	v_pk_add_f32 v[64:65], v[152:153], v[64:65]
	;; [unrolled: 2-line block ×3, first 2 shown]
	v_pk_add_f32 v[134:135], v[156:157], v[134:135]
	v_mov_b32_e32 v124, v144
	v_mov_b32_e32 v125, v71
	v_pk_add_f32 v[62:63], v[68:69], v[62:63]
	v_mov_b32_e32 v71, v145
	v_pk_add_f32 v[64:65], v[160:161], v[64:65]
	v_mov_b32_e32 v149, v159
	v_mov_b32_e32 v165, v163
	v_pk_add_f32 v[60:61], v[182:183], v[60:61]
	v_pk_add_f32 v[124:125], v[124:125], v[134:135]
	;; [unrolled: 1-line block ×5, first 2 shown]
	v_add_u32_e32 v20, 0x1200, v72
	ds_write2_b64 v83, v[128:129], v[124:125] offset0:4 offset1:5
	ds_write2_b64 v83, v[62:63], v[64:65] offset0:6 offset1:7
	;; [unrolled: 1-line block ×3, first 2 shown]
	ds_write_b64 v83, v[118:119] offset:80
	s_waitcnt lgkmcnt(0)
	s_barrier
	ds_read2_b64 v[68:71], v20 offset0:29 offset1:194
	v_add_u32_e32 v20, 0x2400, v72
	ds_read2_b64 v[60:63], v72 offset1:165
	ds_read2_b64 v[64:67], v20 offset0:58 offset1:223
	ds_read_b64 v[122:123], v72 offset:2640
	ds_read_b64 v[128:129], v72 offset:7480
	;; [unrolled: 1-line block ×3, first 2 shown]
	v_mov_b32_e32 v20, v21
	v_mov_b32_e32 v126, v22
	;; [unrolled: 1-line block ×4, first 2 shown]
	s_and_saveexec_b64 s[2:3], vcc
	s_cbranch_execz .LBB0_11
; %bb.10:
	ds_read_b64 v[120:121], v72 offset:3960
	ds_read_b64 v[118:119], v72 offset:8800
	;; [unrolled: 1-line block ×3, first 2 shown]
.LBB0_11:
	s_or_b64 exec, exec, s[2:3]
	s_waitcnt lgkmcnt(1)
	v_pk_mul_f32 v[140:141], v[8:9], v[118:119] op_sel:[0,1]
	v_pk_mul_f32 v[134:135], v[12:13], v[68:69]
	s_waitcnt lgkmcnt(0)
	v_pk_mul_f32 v[142:143], v[10:11], v[106:107] op_sel:[0,1]
	v_pk_fma_f32 v[12:13], v[8:9], v[118:119], v[140:141] op_sel:[0,0,1] op_sel_hi:[1,1,0]
	v_pk_fma_f32 v[8:9], v[8:9], v[118:119], v[140:141] op_sel:[0,0,1] op_sel_hi:[1,0,0] neg_lo:[1,0,0] neg_hi:[1,0,0]
	s_mov_b32 s2, 0x3f5db3d7
	v_mov_b32_e32 v13, v9
	v_pk_fma_f32 v[8:9], v[10:11], v[106:107], v[142:143] op_sel:[0,0,1] op_sel_hi:[1,1,0]
	v_pk_fma_f32 v[10:11], v[10:11], v[106:107], v[142:143] op_sel:[0,0,1] op_sel_hi:[1,0,0] neg_lo:[1,0,0] neg_hi:[1,0,0]
	v_pk_mul_f32 v[14:15], v[14:15], v[64:65]
	v_mov_b32_e32 v9, v11
	v_pk_add_f32 v[10:11], v[12:13], v[8:9]
	v_pk_add_f32 v[106:107], v[12:13], v[8:9] neg_lo:[0,1] neg_hi:[0,1]
	v_pk_fma_f32 v[10:11], v[10:11], 0.5, v[120:121] op_sel_hi:[1,0,1] neg_lo:[1,0,0] neg_hi:[1,0,0]
	v_pk_mul_f32 v[106:107], v[106:107], s[2:3] op_sel_hi:[1,0]
	v_pk_mul_f32 v[16:17], v[16:17], v[70:71]
	v_pk_add_f32 v[140:141], v[10:11], v[106:107] op_sel:[0,1] op_sel_hi:[1,0] neg_lo:[0,1] neg_hi:[0,1]
	v_pk_add_f32 v[118:119], v[10:11], v[106:107] op_sel:[0,1] op_sel_hi:[1,0]
	v_pk_fma_f32 v[10:11], v[116:117], v[68:69], v[134:135] op_sel:[0,0,1] op_sel_hi:[1,1,0]
	v_pk_fma_f32 v[68:69], v[116:117], v[68:69], v[134:135] op_sel:[0,0,1] op_sel_hi:[1,1,0] neg_lo:[0,0,1] neg_hi:[0,0,1]
	v_pk_mul_f32 v[18:19], v[18:19], v[66:67]
	v_mov_b32_e32 v11, v69
	v_pk_fma_f32 v[68:69], v[114:115], v[64:65], v[14:15] op_sel:[0,0,1] op_sel_hi:[1,1,0]
	v_pk_fma_f32 v[14:15], v[114:115], v[64:65], v[14:15] op_sel:[0,0,1] op_sel_hi:[1,1,0] neg_lo:[0,0,1] neg_hi:[0,0,1]
	s_nop 0
	v_mov_b32_e32 v69, v15
	v_pk_add_f32 v[14:15], v[60:61], v[10:11]
	v_pk_add_f32 v[64:65], v[10:11], v[68:69]
	v_pk_add_f32 v[10:11], v[10:11], v[68:69] neg_lo:[0,1] neg_hi:[0,1]
	v_pk_fma_f32 v[60:61], v[64:65], 0.5, v[60:61] op_sel_hi:[1,0,1] neg_lo:[1,0,0] neg_hi:[1,0,0]
	v_pk_mul_f32 v[10:11], v[10:11], s[2:3] op_sel_hi:[1,0]
	v_pk_add_f32 v[14:15], v[14:15], v[68:69]
	v_pk_add_f32 v[64:65], v[60:61], v[10:11] op_sel:[0,1] op_sel_hi:[1,0] neg_lo:[0,1] neg_hi:[0,1]
	v_pk_add_f32 v[10:11], v[60:61], v[10:11] op_sel:[0,1] op_sel_hi:[1,0]
	v_mov_b32_e32 v60, v64
	v_mov_b32_e32 v61, v11
	v_mov_b32_e32 v11, v65
	s_barrier
	ds_write2_b64 v132, v[14:15], v[60:61] offset1:11
	ds_write_b64 v132, v[10:11] offset:176
	v_pk_fma_f32 v[10:11], v[112:113], v[70:71], v[16:17] op_sel:[0,0,1] op_sel_hi:[1,1,0]
	v_pk_fma_f32 v[14:15], v[112:113], v[70:71], v[16:17] op_sel:[0,0,1] op_sel_hi:[1,1,0] neg_lo:[0,0,1] neg_hi:[0,0,1]
	v_pk_fma_f32 v[16:17], v[110:111], v[66:67], v[18:19] op_sel:[0,0,1] op_sel_hi:[1,1,0] neg_lo:[0,0,1] neg_hi:[0,0,1]
	v_mov_b32_e32 v11, v15
	v_pk_fma_f32 v[14:15], v[110:111], v[66:67], v[18:19] op_sel:[0,0,1] op_sel_hi:[1,1,0]
	v_pk_mul_f32 v[20:21], v[20:21], v[128:129]
	v_mov_b32_e32 v15, v17
	v_pk_add_f32 v[16:17], v[10:11], v[14:15]
	v_pk_add_f32 v[18:19], v[10:11], v[14:15] neg_lo:[0,1] neg_hi:[0,1]
	v_pk_fma_f32 v[16:17], v[16:17], 0.5, v[62:63] op_sel_hi:[1,0,1] neg_lo:[1,0,0] neg_hi:[1,0,0]
	v_pk_mul_f32 v[18:19], v[18:19], s[2:3] op_sel_hi:[1,0]
	v_pk_add_f32 v[10:11], v[62:63], v[10:11]
	v_pk_add_f32 v[60:61], v[16:17], v[18:19] op_sel:[0,1] op_sel_hi:[1,0]
	v_pk_add_f32 v[16:17], v[16:17], v[18:19] op_sel:[0,1] op_sel_hi:[1,0] neg_lo:[0,1] neg_hi:[0,1]
	v_pk_add_f32 v[10:11], v[10:11], v[14:15]
	v_mov_b32_e32 v14, v16
	v_mov_b32_e32 v15, v61
	v_pk_mul_f32 v[22:23], v[22:23], v[124:125]
	ds_write2_b64 v131, v[10:11], v[14:15] offset1:11
	v_pk_fma_f32 v[10:11], v[108:109], v[128:129], v[20:21] op_sel:[0,0,1] op_sel_hi:[1,1,0]
	v_pk_fma_f32 v[14:15], v[108:109], v[128:129], v[20:21] op_sel:[0,0,1] op_sel_hi:[1,1,0] neg_lo:[0,0,1] neg_hi:[0,0,1]
	v_mov_b32_e32 v61, v17
	v_mov_b32_e32 v11, v15
	v_pk_fma_f32 v[14:15], v[126:127], v[124:125], v[22:23] op_sel:[0,0,1] op_sel_hi:[1,1,0]
	v_pk_fma_f32 v[16:17], v[126:127], v[124:125], v[22:23] op_sel:[0,0,1] op_sel_hi:[1,1,0] neg_lo:[0,0,1] neg_hi:[0,0,1]
	v_mov_b32_e32 v106, v140
	v_mov_b32_e32 v15, v17
	v_pk_add_f32 v[16:17], v[10:11], v[14:15]
	v_pk_add_f32 v[18:19], v[10:11], v[14:15] neg_lo:[0,1] neg_hi:[0,1]
	v_pk_fma_f32 v[16:17], v[16:17], 0.5, v[122:123] op_sel_hi:[1,0,1] neg_lo:[1,0,0] neg_hi:[1,0,0]
	v_pk_mul_f32 v[18:19], v[18:19], s[2:3] op_sel_hi:[1,0]
	v_pk_add_f32 v[10:11], v[122:123], v[10:11]
	v_pk_add_f32 v[20:21], v[16:17], v[18:19] op_sel:[0,1] op_sel_hi:[1,0]
	v_pk_add_f32 v[16:17], v[16:17], v[18:19] op_sel:[0,1] op_sel_hi:[1,0] neg_lo:[0,1] neg_hi:[0,1]
	v_mov_b32_e32 v107, v119
	v_mov_b32_e32 v119, v141
	v_pk_add_f32 v[10:11], v[10:11], v[14:15]
	v_mov_b32_e32 v14, v16
	v_mov_b32_e32 v15, v21
	;; [unrolled: 1-line block ×3, first 2 shown]
	ds_write_b64 v131, v[60:61] offset:176
	ds_write2_b64 v133, v[10:11], v[14:15] offset1:11
	ds_write_b64 v133, v[20:21] offset:176
	s_and_saveexec_b64 s[2:3], vcc
	s_cbranch_execz .LBB0_13
; %bb.12:
	v_mad_legacy_u16 v10, v75, 33, v130
	v_lshlrev_b32_e32 v14, 3, v10
	v_pk_add_f32 v[10:11], v[120:121], v[12:13]
	s_nop 0
	v_pk_add_f32 v[8:9], v[10:11], v[8:9]
	ds_write2_b64 v14, v[8:9], v[106:107] offset1:11
	ds_write_b64 v14, v[118:119] offset:176
.LBB0_13:
	s_or_b64 exec, exec, s[2:3]
	v_add_u32_e32 v12, 0xa00, v72
	s_waitcnt lgkmcnt(0)
	s_barrier
	ds_read2_b64 v[60:63], v12 offset0:43 offset1:208
	v_add_u32_e32 v12, 0x1400, v72
	ds_read2_b64 v[20:23], v12 offset0:86 offset1:251
	v_add_u32_e32 v12, 0x2000, v72
	;; [unrolled: 2-line block ×3, first 2 shown]
	ds_read2_b64 v[8:11], v72 offset1:165
	ds_read2_b64 v[12:15], v12 offset0:44 offset1:209
	v_mov_b32_e32 v134, v28
	v_mov_b32_e32 v135, v28
	;; [unrolled: 1-line block ×24, first 2 shown]
	s_and_saveexec_b64 s[2:3], s[0:1]
	s_cbranch_execz .LBB0_15
; %bb.14:
	ds_read_b64 v[106:107], v72 offset:2640
	ds_read_b64 v[118:119], v72 offset:5544
	;; [unrolled: 1-line block ×5, first 2 shown]
.LBB0_15:
	s_or_b64 exec, exec, s[2:3]
	s_waitcnt lgkmcnt(4)
	v_pk_mul_f32 v[28:29], v[28:29], v[60:61]
	s_waitcnt lgkmcnt(3)
	v_pk_mul_f32 v[30:31], v[30:31], v[20:21]
	v_pk_fma_f32 v[140:141], v[134:135], v[60:61], v[28:29] op_sel:[0,0,1] op_sel_hi:[1,1,0]
	v_pk_fma_f32 v[28:29], v[134:135], v[60:61], v[28:29] op_sel:[0,0,1] op_sel_hi:[1,1,0] neg_lo:[0,0,1] neg_hi:[0,0,1]
	s_waitcnt lgkmcnt(2)
	v_pk_mul_f32 v[24:25], v[24:25], v[16:17]
	v_mov_b32_e32 v141, v29
	v_pk_fma_f32 v[28:29], v[132:133], v[20:21], v[30:31] op_sel:[0,0,1] op_sel_hi:[1,1,0]
	v_pk_fma_f32 v[20:21], v[132:133], v[20:21], v[30:31] op_sel:[0,0,1] op_sel_hi:[1,1,0] neg_lo:[0,0,1] neg_hi:[0,0,1]
	s_waitcnt lgkmcnt(0)
	v_pk_mul_f32 v[26:27], v[26:27], v[12:13]
	v_mov_b32_e32 v29, v21
	v_pk_fma_f32 v[20:21], v[130:131], v[16:17], v[24:25] op_sel:[0,0,1] op_sel_hi:[1,1,0]
	v_pk_fma_f32 v[16:17], v[130:131], v[16:17], v[24:25] op_sel:[0,0,1] op_sel_hi:[1,1,0] neg_lo:[0,0,1] neg_hi:[0,0,1]
	s_mov_b32 s2, 0x3f737871
	v_mov_b32_e32 v21, v17
	v_pk_fma_f32 v[16:17], v[128:129], v[12:13], v[26:27] op_sel:[0,0,1] op_sel_hi:[1,1,0]
	v_pk_fma_f32 v[12:13], v[128:129], v[12:13], v[26:27] op_sel:[0,0,1] op_sel_hi:[1,1,0] neg_lo:[0,0,1] neg_hi:[0,0,1]
	v_pk_add_f32 v[24:25], v[28:29], v[20:21]
	v_mov_b32_e32 v17, v13
	v_pk_add_f32 v[26:27], v[140:141], v[16:17] neg_lo:[0,1] neg_hi:[0,1]
	v_pk_fma_f32 v[24:25], v[24:25], 0.5, v[8:9] op_sel_hi:[1,0,1] neg_lo:[1,0,0] neg_hi:[1,0,0]
	v_pk_mul_f32 v[30:31], v[26:27], s[2:3] op_sel_hi:[1,0]
	v_pk_add_f32 v[60:61], v[28:29], v[20:21] neg_lo:[0,1] neg_hi:[0,1]
	s_mov_b32 s8, 0x3f167918
	v_pk_add_f32 v[130:131], v[140:141], v[28:29] neg_lo:[0,1] neg_hi:[0,1]
	v_pk_add_f32 v[132:133], v[16:17], v[20:21] neg_lo:[0,1] neg_hi:[0,1]
	v_pk_add_f32 v[12:13], v[8:9], v[140:141]
	v_pk_mul_f32 v[128:129], v[60:61], s[8:9] op_sel_hi:[1,0]
	v_pk_add_f32 v[130:131], v[130:131], v[132:133]
	v_pk_add_f32 v[132:133], v[24:25], v[30:31] op_sel:[0,1] op_sel_hi:[1,0] neg_lo:[0,1] neg_hi:[0,1]
	v_pk_add_f32 v[24:25], v[24:25], v[30:31] op_sel:[0,1] op_sel_hi:[1,0]
	v_pk_add_f32 v[12:13], v[12:13], v[28:29]
	v_pk_add_f32 v[24:25], v[24:25], v[128:129] op_sel:[0,1] op_sel_hi:[1,0]
	v_pk_add_f32 v[30:31], v[132:133], v[128:129] op_sel:[0,1] op_sel_hi:[1,0] neg_lo:[0,1] neg_hi:[0,1]
	v_pk_add_f32 v[12:13], v[12:13], v[20:21]
	s_mov_b32 s10, 0x3e9e377a
	v_mov_b32_e32 v128, v30
	v_mov_b32_e32 v129, v25
	v_pk_add_f32 v[12:13], v[12:13], v[16:17]
	v_pk_fma_f32 v[128:129], v[130:131], s[10:11], v[128:129] op_sel_hi:[1,0,1]
	s_barrier
	ds_write2_b64 v136, v[12:13], v[128:129] offset1:33
	v_pk_add_f32 v[12:13], v[140:141], v[16:17]
	v_pk_add_f32 v[16:17], v[20:21], v[16:17] neg_lo:[0,1] neg_hi:[0,1]
	v_pk_fma_f32 v[8:9], v[12:13], 0.5, v[8:9] op_sel_hi:[1,0,1] neg_lo:[1,0,0] neg_hi:[1,0,0]
	v_pk_add_f32 v[12:13], v[28:29], v[140:141] neg_lo:[0,1] neg_hi:[0,1]
	v_pk_mul_f32 v[20:21], v[26:27], s[8:9] op_sel_hi:[1,0]
	v_pk_add_f32 v[12:13], v[12:13], v[16:17]
	v_pk_mul_f32 v[16:17], v[60:61], s[2:3] op_sel_hi:[1,0]
	v_mov_b32_e32 v25, v31
	v_pk_add_f32 v[26:27], v[8:9], v[16:17] op_sel:[0,1] op_sel_hi:[1,0]
	v_pk_add_f32 v[8:9], v[8:9], v[16:17] op_sel:[0,1] op_sel_hi:[1,0] neg_lo:[0,1] neg_hi:[0,1]
	v_pk_add_f32 v[16:17], v[26:27], v[20:21] op_sel:[0,1] op_sel_hi:[1,0] neg_lo:[0,1] neg_hi:[0,1]
	v_pk_add_f32 v[8:9], v[8:9], v[20:21] op_sel:[0,1] op_sel_hi:[1,0]
	v_mov_b32_e32 v20, v16
	v_mov_b32_e32 v21, v9
	;; [unrolled: 1-line block ×3, first 2 shown]
	v_pk_fma_f32 v[20:21], v[12:13], s[10:11], v[20:21] op_sel_hi:[1,0,1]
	v_pk_fma_f32 v[8:9], v[12:13], s[10:11], v[8:9] op_sel_hi:[1,0,1]
	v_pk_mul_f32 v[40:41], v[40:41], v[62:63]
	ds_write2_b64 v136, v[20:21], v[8:9] offset0:66 offset1:99
	v_pk_fma_f32 v[8:9], v[130:131], s[10:11], v[24:25] op_sel_hi:[1,0,1]
	v_pk_mul_f32 v[42:43], v[42:43], v[22:23]
	ds_write_b64 v136, v[8:9] offset:1056
	v_pk_fma_f32 v[8:9], v[124:125], v[62:63], v[40:41] op_sel:[0,0,1] op_sel_hi:[1,1,0]
	v_pk_fma_f32 v[12:13], v[124:125], v[62:63], v[40:41] op_sel:[0,0,1] op_sel_hi:[1,1,0] neg_lo:[0,0,1] neg_hi:[0,0,1]
	v_pk_mul_f32 v[36:37], v[36:37], v[18:19]
	v_mov_b32_e32 v9, v13
	v_pk_fma_f32 v[12:13], v[122:123], v[22:23], v[42:43] op_sel:[0,0,1] op_sel_hi:[1,1,0]
	v_pk_fma_f32 v[16:17], v[122:123], v[22:23], v[42:43] op_sel:[0,0,1] op_sel_hi:[1,1,0] neg_lo:[0,0,1] neg_hi:[0,0,1]
	v_pk_mul_f32 v[38:39], v[38:39], v[14:15]
	v_mov_b32_e32 v13, v17
	v_pk_fma_f32 v[16:17], v[120:121], v[18:19], v[36:37] op_sel:[0,0,1] op_sel_hi:[1,1,0]
	v_pk_fma_f32 v[18:19], v[120:121], v[18:19], v[36:37] op_sel:[0,0,1] op_sel_hi:[1,1,0] neg_lo:[0,0,1] neg_hi:[0,0,1]
	v_pk_add_f32 v[24:25], v[8:9], v[12:13] neg_lo:[0,1] neg_hi:[0,1]
	v_mov_b32_e32 v17, v19
	v_pk_fma_f32 v[18:19], v[126:127], v[14:15], v[38:39] op_sel:[0,0,1] op_sel_hi:[1,1,0]
	v_pk_fma_f32 v[14:15], v[126:127], v[14:15], v[38:39] op_sel:[0,0,1] op_sel_hi:[1,1,0] neg_lo:[0,0,1] neg_hi:[0,0,1]
	v_pk_add_f32 v[22:23], v[12:13], v[16:17] neg_lo:[0,1] neg_hi:[0,1]
	v_mov_b32_e32 v19, v15
	v_pk_add_f32 v[14:15], v[12:13], v[16:17]
	v_pk_add_f32 v[20:21], v[8:9], v[18:19] neg_lo:[0,1] neg_hi:[0,1]
	v_pk_fma_f32 v[14:15], v[14:15], 0.5, v[10:11] op_sel_hi:[1,0,1] neg_lo:[1,0,0] neg_hi:[1,0,0]
	v_pk_add_f32 v[26:27], v[18:19], v[16:17] neg_lo:[0,1] neg_hi:[0,1]
	v_pk_add_f32 v[30:31], v[10:11], v[8:9]
	v_pk_add_f32 v[24:25], v[24:25], v[26:27]
	v_pk_fma_f32 v[26:27], v[20:21], s[2:3], v[14:15] op_sel:[1,0,0] op_sel_hi:[0,0,1]
	v_pk_fma_f32 v[14:15], v[20:21], s[2:3], v[14:15] op_sel:[1,0,0] op_sel_hi:[0,0,1] neg_lo:[1,0,0] neg_hi:[1,0,0]
	v_pk_fma_f32 v[14:15], v[22:23], s[8:9], v[14:15] op_sel:[1,0,0] op_sel_hi:[0,0,1] neg_lo:[1,0,0] neg_hi:[1,0,0]
	v_pk_fma_f32 v[26:27], v[22:23], s[8:9], v[26:27] op_sel:[1,0,0] op_sel_hi:[0,0,1]
	v_pk_add_f32 v[30:31], v[30:31], v[12:13]
	v_mov_b32_e32 v29, v15
	v_pk_add_f32 v[30:31], v[30:31], v[16:17]
	v_mov_b32_e32 v15, v27
	v_pk_add_f32 v[30:31], v[30:31], v[18:19]
	v_pk_fma_f32 v[14:15], v[24:25], s[10:11], v[14:15] op_sel_hi:[1,0,1]
	ds_write2_b64 v138, v[30:31], v[14:15] offset1:33
	v_pk_add_f32 v[14:15], v[8:9], v[18:19]
	v_pk_add_f32 v[8:9], v[12:13], v[8:9] neg_lo:[0,1] neg_hi:[0,1]
	v_pk_fma_f32 v[10:11], v[14:15], 0.5, v[10:11] op_sel_hi:[1,0,1] neg_lo:[1,0,0] neg_hi:[1,0,0]
	v_pk_add_f32 v[12:13], v[16:17], v[18:19] neg_lo:[0,1] neg_hi:[0,1]
	v_mov_b32_e32 v116, v34
	v_pk_add_f32 v[8:9], v[8:9], v[12:13]
	v_pk_fma_f32 v[12:13], v[22:23], s[2:3], v[10:11] op_sel:[1,0,0] op_sel_hi:[0,0,1] neg_lo:[1,0,0] neg_hi:[1,0,0]
	v_pk_fma_f32 v[10:11], v[22:23], s[2:3], v[10:11] op_sel:[1,0,0] op_sel_hi:[0,0,1]
	v_pk_fma_f32 v[10:11], v[20:21], s[8:9], v[10:11] op_sel:[1,0,0] op_sel_hi:[0,0,1] neg_lo:[1,0,0] neg_hi:[1,0,0]
	v_pk_fma_f32 v[12:13], v[20:21], s[8:9], v[12:13] op_sel:[1,0,0] op_sel_hi:[0,0,1]
	v_mov_b32_e32 v14, v12
	v_mov_b32_e32 v15, v11
	;; [unrolled: 1-line block ×30, first 2 shown]
	v_pk_fma_f32 v[14:15], v[8:9], s[10:11], v[14:15] op_sel_hi:[1,0,1]
	v_pk_fma_f32 v[8:9], v[8:9], s[10:11], v[10:11] op_sel_hi:[1,0,1]
	;; [unrolled: 1-line block ×3, first 2 shown]
	ds_write2_b64 v138, v[8:9], v[14:15] offset0:66 offset1:99
	ds_write_b64 v138, v[28:29] offset:1056
	s_and_saveexec_b64 s[14:15], s[0:1]
	s_cbranch_execz .LBB0_17
; %bb.16:
	v_pk_mul_f32 v[8:9], v[6:7], v[104:105] op_sel:[0,1]
	v_mov_b32_e32 v10, v119
	v_pk_mul_f32 v[10:11], v[4:5], v[10:11] op_sel_hi:[1,0]
	v_pk_fma_f32 v[16:17], v[6:7], v[104:105], v[8:9] op_sel:[0,0,1] op_sel_hi:[1,1,0]
	v_pk_fma_f32 v[6:7], v[6:7], v[104:105], v[8:9] op_sel:[0,0,1] op_sel_hi:[1,0,0] neg_lo:[1,0,0] neg_hi:[1,0,0]
	v_pk_mul_f32 v[12:13], v[0:1], v[102:103] op_sel:[0,1]
	v_mov_b32_e32 v17, v7
	v_pk_fma_f32 v[6:7], v[4:5], v[118:119], v[10:11] op_sel:[0,0,1] op_sel_hi:[1,1,0]
	v_pk_fma_f32 v[4:5], v[4:5], v[118:119], v[10:11] op_sel:[0,0,1] op_sel_hi:[1,0,0] neg_lo:[1,0,0] neg_hi:[1,0,0]
	v_pk_mul_f32 v[14:15], v[2:3], v[100:101] op_sel:[0,1]
	v_mov_b32_e32 v7, v5
	v_pk_fma_f32 v[4:5], v[0:1], v[102:103], v[12:13] op_sel:[0,0,1] op_sel_hi:[1,1,0]
	v_pk_fma_f32 v[0:1], v[0:1], v[102:103], v[12:13] op_sel:[0,0,1] op_sel_hi:[1,0,0] neg_lo:[1,0,0] neg_hi:[1,0,0]
	v_pk_add_f32 v[12:13], v[6:7], v[16:17] neg_lo:[0,1] neg_hi:[0,1]
	v_mov_b32_e32 v5, v1
	v_pk_fma_f32 v[0:1], v[2:3], v[100:101], v[14:15] op_sel:[0,0,1] op_sel_hi:[1,1,0]
	v_pk_fma_f32 v[2:3], v[2:3], v[100:101], v[14:15] op_sel:[0,0,1] op_sel_hi:[1,0,0] neg_lo:[1,0,0] neg_hi:[1,0,0]
	v_pk_add_f32 v[10:11], v[16:17], v[4:5]
	v_mov_b32_e32 v1, v3
	v_pk_add_f32 v[8:9], v[6:7], v[0:1] neg_lo:[0,1] neg_hi:[0,1]
	v_pk_fma_f32 v[10:11], v[10:11], 0.5, v[106:107] op_sel_hi:[1,0,1] neg_lo:[1,0,0] neg_hi:[1,0,0]
	v_pk_add_f32 v[14:15], v[0:1], v[4:5] neg_lo:[0,1] neg_hi:[0,1]
	v_pk_add_f32 v[2:3], v[16:17], v[4:5] neg_lo:[0,1] neg_hi:[0,1]
	v_pk_add_f32 v[12:13], v[12:13], v[14:15]
	v_pk_fma_f32 v[14:15], v[8:9], s[2:3], v[10:11] op_sel:[1,0,0] op_sel_hi:[0,0,1]
	v_pk_fma_f32 v[10:11], v[8:9], s[2:3], v[10:11] op_sel:[1,0,0] op_sel_hi:[0,0,1] neg_lo:[1,0,0] neg_hi:[1,0,0]
	v_pk_add_f32 v[20:21], v[106:107], v[6:7]
	v_pk_fma_f32 v[10:11], v[2:3], s[8:9], v[10:11] op_sel:[1,0,0] op_sel_hi:[0,0,1] neg_lo:[1,0,0] neg_hi:[1,0,0]
	v_pk_fma_f32 v[14:15], v[2:3], s[8:9], v[14:15] op_sel:[1,0,0] op_sel_hi:[0,0,1]
	v_pk_add_f32 v[20:21], v[20:21], v[16:17]
	v_mov_b32_e32 v18, v14
	v_mov_b32_e32 v19, v11
	v_pk_add_f32 v[20:21], v[20:21], v[4:5]
	v_mov_b32_e32 v11, v15
	v_pk_fma_f32 v[18:19], v[12:13], s[10:11], v[18:19] op_sel_hi:[1,0,1]
	v_pk_add_f32 v[20:21], v[20:21], v[0:1]
	v_pk_fma_f32 v[10:11], v[12:13], s[10:11], v[10:11] op_sel_hi:[1,0,1]
	v_add_u32_e32 v12, 0x3000, v137
	ds_write2_b64 v12, v[20:21], v[10:11] offset0:114 offset1:147
	v_pk_add_f32 v[10:11], v[6:7], v[0:1]
	v_pk_add_f32 v[0:1], v[4:5], v[0:1] neg_lo:[0,1] neg_hi:[0,1]
	v_pk_fma_f32 v[10:11], v[10:11], 0.5, v[106:107] op_sel_hi:[1,0,1] neg_lo:[1,0,0] neg_hi:[1,0,0]
	v_pk_add_f32 v[6:7], v[16:17], v[6:7] neg_lo:[0,1] neg_hi:[0,1]
	v_pk_fma_f32 v[4:5], v[2:3], s[2:3], v[10:11] op_sel:[1,0,0] op_sel_hi:[0,0,1] neg_lo:[1,0,0] neg_hi:[1,0,0]
	v_pk_fma_f32 v[2:3], v[2:3], s[2:3], v[10:11] op_sel:[1,0,0] op_sel_hi:[0,0,1]
	v_pk_fma_f32 v[2:3], v[8:9], s[8:9], v[2:3] op_sel:[1,0,0] op_sel_hi:[0,0,1] neg_lo:[1,0,0] neg_hi:[1,0,0]
	v_pk_fma_f32 v[4:5], v[8:9], s[8:9], v[4:5] op_sel:[1,0,0] op_sel_hi:[0,0,1]
	v_pk_add_f32 v[0:1], v[6:7], v[0:1]
	v_mov_b32_e32 v6, v4
	v_mov_b32_e32 v7, v3
	v_mov_b32_e32 v3, v5
	v_pk_fma_f32 v[6:7], v[0:1], s[10:11], v[6:7] op_sel_hi:[1,0,1]
	v_pk_fma_f32 v[0:1], v[0:1], s[10:11], v[2:3] op_sel_hi:[1,0,1]
	ds_write2_b64 v12, v[0:1], v[6:7] offset0:180 offset1:213
	ds_write_b64 v137, v[18:19] offset:14256
.LBB0_17:
	s_or_b64 exec, exec, s[14:15]
	v_add_u32_e32 v9, 0x800, v72
	s_waitcnt lgkmcnt(0)
	s_barrier
	ds_read2_b64 v[10:13], v9 offset0:74 offset1:239
	ds_read2_b64 v[0:3], v72 offset1:165
	v_add_u32_e32 v73, 0x1400, v72
	ds_read2_b64 v[14:17], v73 offset0:20 offset1:185
	v_add_u32_e32 v75, 0x1e00, v72
	s_waitcnt lgkmcnt(2)
	v_pk_mul_f32 v[28:29], v[34:35], v[10:11]
	ds_read2_b64 v[18:21], v75 offset0:30 offset1:195
	v_pk_fma_f32 v[30:31], v[116:117], v[10:11], v[28:29] op_sel:[0,0,1] op_sel_hi:[1,1,0]
	v_pk_fma_f32 v[10:11], v[116:117], v[10:11], v[28:29] op_sel:[0,0,1] op_sel_hi:[1,1,0] neg_lo:[0,0,1] neg_hi:[0,0,1]
	v_add_u32_e32 v8, 0x2800, v72
	v_mov_b32_e32 v31, v11
	v_pk_mul_f32 v[10:11], v[56:57], v[12:13]
	ds_read2_b64 v[22:25], v8 offset0:40 offset1:205
	ds_read_b64 v[26:27], v72 offset:13200
	v_pk_fma_f32 v[28:29], v[114:115], v[12:13], v[10:11] op_sel:[0,0,1] op_sel_hi:[1,1,0]
	v_pk_fma_f32 v[10:11], v[114:115], v[12:13], v[10:11] op_sel:[0,0,1] op_sel_hi:[1,1,0] neg_lo:[0,0,1] neg_hi:[0,0,1]
	v_mad_u64_u32 v[6:7], s[0:1], s6, v82, 0
	v_mov_b32_e32 v29, v11
	s_waitcnt lgkmcnt(3)
	v_pk_mul_f32 v[10:11], v[58:59], v[14:15]
	s_mov_b32 s10, 0xbf0a6770
	v_pk_fma_f32 v[12:13], v[112:113], v[14:15], v[10:11] op_sel:[0,0,1] op_sel_hi:[1,1,0]
	v_pk_fma_f32 v[10:11], v[112:113], v[14:15], v[10:11] op_sel:[0,0,1] op_sel_hi:[1,1,0] neg_lo:[0,0,1] neg_hi:[0,0,1]
	s_mov_b32 s0, 0x3f575c64
	v_mov_b32_e32 v13, v11
	v_pk_mul_f32 v[10:11], v[52:53], v[16:17]
	s_mov_b32 s20, 0xbf68dda4
	v_pk_fma_f32 v[14:15], v[110:111], v[16:17], v[10:11] op_sel:[0,0,1] op_sel_hi:[1,1,0]
	v_pk_fma_f32 v[10:11], v[110:111], v[16:17], v[10:11] op_sel:[0,0,1] op_sel_hi:[1,1,0] neg_lo:[0,0,1] neg_hi:[0,0,1]
	s_mov_b32 s2, 0x3ed4b147
	v_mov_b32_e32 v15, v11
	s_waitcnt lgkmcnt(2)
	v_pk_mul_f32 v[10:11], v[54:55], v[18:19]
	s_mov_b32 s8, 0xbf7d64f0
	v_pk_fma_f32 v[16:17], v[108:109], v[18:19], v[10:11] op_sel:[0,0,1] op_sel_hi:[1,1,0]
	v_pk_fma_f32 v[10:11], v[108:109], v[18:19], v[10:11] op_sel:[0,0,1] op_sel_hi:[1,1,0] neg_lo:[0,0,1] neg_hi:[0,0,1]
	s_mov_b32 s6, 0xbe11bafb
	v_mov_b32_e32 v17, v11
	v_pk_mul_f32 v[10:11], v[44:45], v[20:21]
	s_mov_b32 s14, 0xbf4178ce
	v_pk_fma_f32 v[18:19], v[70:71], v[20:21], v[10:11] op_sel:[0,0,1] op_sel_hi:[1,1,0]
	v_pk_fma_f32 v[10:11], v[70:71], v[20:21], v[10:11] op_sel:[0,0,1] op_sel_hi:[1,1,0] neg_lo:[0,0,1] neg_hi:[0,0,1]
	v_mov_b32_e32 v4, s12
	v_mov_b32_e32 v19, v11
	s_waitcnt lgkmcnt(1)
	v_pk_mul_f32 v[10:11], v[46:47], v[22:23]
	s_mov_b32 s12, 0xbf27a4f4
	v_pk_fma_f32 v[20:21], v[68:69], v[22:23], v[10:11] op_sel:[0,0,1] op_sel_hi:[1,1,0]
	v_pk_fma_f32 v[10:11], v[68:69], v[22:23], v[10:11] op_sel:[0,0,1] op_sel_hi:[1,1,0] neg_lo:[0,0,1] neg_hi:[0,0,1]
	s_mov_b32 s18, 0xbe903f40
	v_mov_b32_e32 v21, v11
	v_pk_mul_f32 v[10:11], v[48:49], v[24:25]
	s_mov_b32 s16, 0xbf75a155
	v_pk_fma_f32 v[22:23], v[66:67], v[24:25], v[10:11] op_sel:[0,0,1] op_sel_hi:[1,1,0]
	v_pk_fma_f32 v[10:11], v[66:67], v[24:25], v[10:11] op_sel:[0,0,1] op_sel_hi:[1,1,0] neg_lo:[0,0,1] neg_hi:[0,0,1]
	s_mov_b32 s22, 0x3f7d64f0
	v_mov_b32_e32 v23, v11
	s_waitcnt lgkmcnt(0)
	v_pk_mul_f32 v[10:11], v[50:51], v[26:27]
	v_pk_add_f32 v[36:37], v[30:31], v[22:23]
	v_pk_fma_f32 v[24:25], v[64:65], v[26:27], v[10:11] op_sel:[0,0,1] op_sel_hi:[1,1,0]
	v_pk_fma_f32 v[10:11], v[64:65], v[26:27], v[10:11] op_sel:[0,0,1] op_sel_hi:[1,1,0] neg_lo:[0,0,1] neg_hi:[0,0,1]
	s_mov_b32 s24, 0x3f0a6770
	v_mov_b32_e32 v25, v11
	v_pk_mul_f32 v[10:11], v[32:33], v[2:3] op_sel:[1,0]
	v_mov_b32_e32 v5, s13
	v_pk_fma_f32 v[26:27], v[32:33], v[2:3], v[10:11] op_sel:[0,0,1] op_sel_hi:[1,1,0]
	v_pk_fma_f32 v[2:3], v[32:33], v[2:3], v[10:11] op_sel:[0,0,1] op_sel_hi:[0,1,0] neg_lo:[0,0,1] neg_hi:[0,0,1]
	v_mov_b32_e32 v27, v3
	v_pk_add_f32 v[2:3], v[0:1], v[26:27]
	v_pk_add_f32 v[10:11], v[26:27], v[24:25]
	;; [unrolled: 1-line block ×3, first 2 shown]
	s_nop 0
	v_pk_add_f32 v[2:3], v[2:3], v[28:29]
	s_nop 0
	v_pk_add_f32 v[2:3], v[2:3], v[12:13]
	;; [unrolled: 2-line block ×7, first 2 shown]
	v_pk_add_f32 v[22:23], v[30:31], v[22:23] neg_lo:[0,1] neg_hi:[0,1]
	v_pk_add_f32 v[2:3], v[2:3], v[24:25]
	v_pk_add_f32 v[24:25], v[26:27], v[24:25] neg_lo:[0,1] neg_hi:[0,1]
	v_pk_mul_f32 v[30:31], v[22:23], s[20:21] op_sel_hi:[1,0]
	v_pk_mul_f32 v[26:27], v[24:25], s[10:11] op_sel_hi:[1,0]
	v_pk_fma_f32 v[38:39], v[36:37], s[2:3], v[30:31] op_sel:[0,0,1] op_sel_hi:[1,0,0]
	v_pk_fma_f32 v[32:33], v[10:11], s[0:1], v[26:27] op_sel:[0,0,1] op_sel_hi:[1,0,0]
	v_pk_fma_f32 v[26:27], v[10:11], s[0:1], v[26:27] op_sel:[0,0,1] op_sel_hi:[1,0,0] neg_lo:[0,0,1] neg_hi:[0,0,1]
	v_mov_b32_e32 v34, v32
	v_mov_b32_e32 v35, v27
	v_pk_fma_f32 v[30:31], v[36:37], s[2:3], v[30:31] op_sel:[0,0,1] op_sel_hi:[1,0,0] neg_lo:[0,0,1] neg_hi:[0,0,1]
	v_pk_add_f32 v[34:35], v[0:1], v[34:35]
	v_mov_b32_e32 v40, v38
	v_mov_b32_e32 v41, v31
	v_pk_add_f32 v[34:35], v[40:41], v[34:35]
	v_pk_add_f32 v[40:41], v[28:29], v[20:21]
	v_pk_add_f32 v[20:21], v[28:29], v[20:21] neg_lo:[0,1] neg_hi:[0,1]
	v_pk_mul_f32 v[54:55], v[22:23], s[14:15] op_sel_hi:[1,0]
	v_pk_mul_f32 v[28:29], v[20:21], s[8:9] op_sel_hi:[1,0]
	v_pk_fma_f32 v[56:57], v[36:37], s[12:13], v[54:55] op_sel:[0,0,1] op_sel_hi:[1,0,0]
	v_pk_fma_f32 v[42:43], v[40:41], s[6:7], v[28:29] op_sel:[0,0,1] op_sel_hi:[1,0,0]
	v_pk_fma_f32 v[28:29], v[40:41], s[6:7], v[28:29] op_sel:[0,0,1] op_sel_hi:[1,0,0] neg_lo:[0,0,1] neg_hi:[0,0,1]
	v_mov_b32_e32 v44, v42
	v_mov_b32_e32 v45, v29
	v_pk_add_f32 v[34:35], v[44:45], v[34:35]
	v_pk_add_f32 v[44:45], v[12:13], v[18:19]
	v_pk_add_f32 v[12:13], v[12:13], v[18:19] neg_lo:[0,1] neg_hi:[0,1]
	v_pk_fma_f32 v[54:55], v[36:37], s[12:13], v[54:55] op_sel:[0,0,1] op_sel_hi:[1,0,0] neg_lo:[0,0,1] neg_hi:[0,0,1]
	v_pk_mul_f32 v[18:19], v[12:13], s[14:15] op_sel_hi:[1,0]
	v_mov_b32_e32 v58, v56
	v_pk_fma_f32 v[46:47], v[44:45], s[12:13], v[18:19] op_sel:[0,0,1] op_sel_hi:[1,0,0]
	v_pk_fma_f32 v[18:19], v[44:45], s[12:13], v[18:19] op_sel:[0,0,1] op_sel_hi:[1,0,0] neg_lo:[0,0,1] neg_hi:[0,0,1]
	v_mov_b32_e32 v48, v46
	v_mov_b32_e32 v49, v19
	v_pk_add_f32 v[34:35], v[48:49], v[34:35]
	v_pk_add_f32 v[48:49], v[14:15], v[16:17]
	v_pk_add_f32 v[14:15], v[14:15], v[16:17] neg_lo:[0,1] neg_hi:[0,1]
	v_mov_b32_e32 v59, v55
	v_pk_mul_f32 v[16:17], v[14:15], s[18:19] op_sel_hi:[1,0]
	v_pk_mul_f32 v[122:123], v[22:23], s[22:23] op_sel_hi:[1,0]
	v_pk_fma_f32 v[50:51], v[48:49], s[16:17], v[16:17] op_sel:[0,0,1] op_sel_hi:[1,0,0]
	v_pk_fma_f32 v[16:17], v[48:49], s[16:17], v[16:17] op_sel:[0,0,1] op_sel_hi:[1,0,0] neg_lo:[0,0,1] neg_hi:[0,0,1]
	v_mov_b32_e32 v52, v50
	v_mov_b32_e32 v53, v17
	v_pk_add_f32 v[34:35], v[52:53], v[34:35]
	ds_write2_b64 v72, v[2:3], v[34:35] offset1:165
	v_pk_mul_f32 v[2:3], v[24:25], s[20:21] op_sel_hi:[1,0]
	s_mov_b32 s20, 0x3e903f40
	v_pk_fma_f32 v[34:35], v[10:11], s[2:3], v[2:3] op_sel:[0,0,1] op_sel_hi:[1,0,0]
	v_pk_fma_f32 v[2:3], v[10:11], s[2:3], v[2:3] op_sel:[0,0,1] op_sel_hi:[1,0,0] neg_lo:[0,0,1] neg_hi:[0,0,1]
	v_mov_b32_e32 v52, v34
	v_mov_b32_e32 v53, v3
	v_pk_add_f32 v[52:53], v[0:1], v[52:53]
	v_pk_mul_f32 v[104:105], v[22:23], s[20:21] op_sel_hi:[1,0]
	v_pk_add_f32 v[52:53], v[58:59], v[52:53]
	v_pk_mul_f32 v[58:59], v[20:21], s[20:21] op_sel_hi:[1,0]
	v_pk_fma_f32 v[106:107], v[36:37], s[16:17], v[104:105] op_sel:[0,0,1] op_sel_hi:[1,0,0]
	v_pk_fma_f32 v[60:61], v[40:41], s[16:17], v[58:59] op_sel:[0,0,1] op_sel_hi:[1,0,0]
	v_pk_fma_f32 v[58:59], v[40:41], s[16:17], v[58:59] op_sel:[0,0,1] op_sel_hi:[1,0,0] neg_lo:[0,0,1] neg_hi:[0,0,1]
	v_mov_b32_e32 v62, v60
	v_mov_b32_e32 v63, v59
	v_pk_add_f32 v[52:53], v[62:63], v[52:53]
	v_pk_mul_f32 v[62:63], v[12:13], s[22:23] op_sel_hi:[1,0]
	v_pk_fma_f32 v[104:105], v[36:37], s[16:17], v[104:105] op_sel:[0,0,1] op_sel_hi:[1,0,0] neg_lo:[0,0,1] neg_hi:[0,0,1]
	v_pk_fma_f32 v[64:65], v[44:45], s[6:7], v[62:63] op_sel:[0,0,1] op_sel_hi:[1,0,0]
	v_pk_fma_f32 v[62:63], v[44:45], s[6:7], v[62:63] op_sel:[0,0,1] op_sel_hi:[1,0,0] neg_lo:[0,0,1] neg_hi:[0,0,1]
	v_mov_b32_e32 v66, v64
	v_mov_b32_e32 v67, v63
	v_pk_add_f32 v[52:53], v[66:67], v[52:53]
	v_pk_mul_f32 v[66:67], v[14:15], s[24:25] op_sel_hi:[1,0]
	v_mov_b32_e32 v108, v106
	v_pk_fma_f32 v[68:69], v[48:49], s[0:1], v[66:67] op_sel:[0,0,1] op_sel_hi:[1,0,0]
	v_pk_fma_f32 v[66:67], v[48:49], s[0:1], v[66:67] op_sel:[0,0,1] op_sel_hi:[1,0,0] neg_lo:[0,0,1] neg_hi:[0,0,1]
	v_mov_b32_e32 v70, v68
	v_mov_b32_e32 v71, v67
	v_pk_add_f32 v[52:53], v[70:71], v[52:53]
	v_pk_mul_f32 v[70:71], v[24:25], s[8:9] op_sel_hi:[1,0]
	v_mov_b32_e32 v109, v105
	v_pk_fma_f32 v[100:101], v[10:11], s[6:7], v[70:71] op_sel:[0,0,1] op_sel_hi:[1,0,0]
	v_pk_fma_f32 v[70:71], v[10:11], s[6:7], v[70:71] op_sel:[0,0,1] op_sel_hi:[1,0,0] neg_lo:[0,0,1] neg_hi:[0,0,1]
	v_mov_b32_e32 v102, v100
	v_mov_b32_e32 v103, v71
	v_pk_add_f32 v[102:103], v[0:1], v[102:103]
	s_mov_b32 s20, 0x3f68dda4
	v_pk_add_f32 v[102:103], v[108:109], v[102:103]
	v_pk_mul_f32 v[108:109], v[20:21], s[20:21] op_sel_hi:[1,0]
	v_pk_fma_f32 v[124:125], v[36:37], s[6:7], v[122:123] op_sel:[0,0,1] op_sel_hi:[1,0,0]
	v_pk_fma_f32 v[110:111], v[40:41], s[2:3], v[108:109] op_sel:[0,0,1] op_sel_hi:[1,0,0]
	v_pk_fma_f32 v[108:109], v[40:41], s[2:3], v[108:109] op_sel:[0,0,1] op_sel_hi:[1,0,0] neg_lo:[0,0,1] neg_hi:[0,0,1]
	v_mov_b32_e32 v112, v110
	v_mov_b32_e32 v113, v109
	v_pk_add_f32 v[102:103], v[112:113], v[102:103]
	v_pk_mul_f32 v[112:113], v[12:13], s[10:11] op_sel_hi:[1,0]
	v_pk_fma_f32 v[122:123], v[36:37], s[6:7], v[122:123] op_sel:[0,0,1] op_sel_hi:[1,0,0] neg_lo:[0,0,1] neg_hi:[0,0,1]
	v_pk_fma_f32 v[114:115], v[44:45], s[0:1], v[112:113] op_sel:[0,0,1] op_sel_hi:[1,0,0]
	v_pk_fma_f32 v[112:113], v[44:45], s[0:1], v[112:113] op_sel:[0,0,1] op_sel_hi:[1,0,0] neg_lo:[0,0,1] neg_hi:[0,0,1]
	v_mov_b32_e32 v116, v114
	v_mov_b32_e32 v117, v113
	v_pk_add_f32 v[102:103], v[116:117], v[102:103]
	v_pk_mul_f32 v[116:117], v[14:15], s[14:15] op_sel_hi:[1,0]
	v_mov_b32_e32 v126, v124
	v_pk_fma_f32 v[118:119], v[48:49], s[12:13], v[116:117] op_sel:[0,0,1] op_sel_hi:[1,0,0]
	v_pk_fma_f32 v[116:117], v[48:49], s[12:13], v[116:117] op_sel:[0,0,1] op_sel_hi:[1,0,0] neg_lo:[0,0,1] neg_hi:[0,0,1]
	v_mov_b32_e32 v120, v118
	v_mov_b32_e32 v121, v117
	v_pk_add_f32 v[102:103], v[120:121], v[102:103]
	ds_write2_b64 v9, v[52:53], v[102:103] offset0:74 offset1:239
	v_pk_mul_f32 v[52:53], v[24:25], s[14:15] op_sel_hi:[1,0]
	v_mov_b32_e32 v127, v123
	v_pk_fma_f32 v[102:103], v[10:11], s[12:13], v[52:53] op_sel:[0,0,1] op_sel_hi:[1,0,0]
	v_pk_fma_f32 v[52:53], v[10:11], s[12:13], v[52:53] op_sel:[0,0,1] op_sel_hi:[1,0,0] neg_lo:[0,0,1] neg_hi:[0,0,1]
	v_mov_b32_e32 v120, v102
	v_mov_b32_e32 v121, v53
	v_pk_add_f32 v[120:121], v[0:1], v[120:121]
	v_pk_mul_f32 v[24:25], v[24:25], s[18:19] op_sel_hi:[1,0]
	v_pk_add_f32 v[120:121], v[126:127], v[120:121]
	v_pk_mul_f32 v[126:127], v[20:21], s[10:11] op_sel_hi:[1,0]
	v_pk_mul_f32 v[22:23], v[22:23], s[24:25] op_sel_hi:[1,0]
	v_pk_fma_f32 v[128:129], v[40:41], s[0:1], v[126:127] op_sel:[0,0,1] op_sel_hi:[1,0,0]
	v_pk_fma_f32 v[126:127], v[40:41], s[0:1], v[126:127] op_sel:[0,0,1] op_sel_hi:[1,0,0] neg_lo:[0,0,1] neg_hi:[0,0,1]
	v_mov_b32_e32 v130, v128
	v_mov_b32_e32 v131, v127
	v_pk_add_f32 v[120:121], v[130:131], v[120:121]
	v_pk_mul_f32 v[130:131], v[12:13], s[18:19] op_sel_hi:[1,0]
	v_pk_fma_f32 v[140:141], v[36:37], s[0:1], v[22:23] op_sel:[0,0,1] op_sel_hi:[1,0,0]
	v_pk_fma_f32 v[132:133], v[44:45], s[16:17], v[130:131] op_sel:[0,0,1] op_sel_hi:[1,0,0]
	v_pk_fma_f32 v[130:131], v[44:45], s[16:17], v[130:131] op_sel:[0,0,1] op_sel_hi:[1,0,0] neg_lo:[0,0,1] neg_hi:[0,0,1]
	v_mov_b32_e32 v134, v132
	v_mov_b32_e32 v135, v131
	v_pk_add_f32 v[120:121], v[134:135], v[120:121]
	v_pk_mul_f32 v[134:135], v[14:15], s[20:21] op_sel_hi:[1,0]
	v_pk_fma_f32 v[22:23], v[36:37], s[0:1], v[22:23] op_sel:[0,0,1] op_sel_hi:[1,0,0] neg_lo:[0,0,1] neg_hi:[0,0,1]
	v_pk_fma_f32 v[136:137], v[48:49], s[2:3], v[134:135] op_sel:[0,0,1] op_sel_hi:[1,0,0]
	v_pk_fma_f32 v[134:135], v[48:49], s[2:3], v[134:135] op_sel:[0,0,1] op_sel_hi:[1,0,0] neg_lo:[0,0,1] neg_hi:[0,0,1]
	v_mov_b32_e32 v138, v136
	v_mov_b32_e32 v139, v135
	v_pk_add_f32 v[120:121], v[138:139], v[120:121]
	v_pk_fma_f32 v[138:139], v[10:11], s[16:17], v[24:25] op_sel:[0,0,1] op_sel_hi:[1,0,0]
	v_pk_fma_f32 v[10:11], v[10:11], s[16:17], v[24:25] op_sel:[0,0,1] op_sel_hi:[1,0,0] neg_lo:[0,0,1] neg_hi:[0,0,1]
	v_mov_b32_e32 v24, v138
	v_mov_b32_e32 v25, v11
	v_pk_add_f32 v[24:25], v[0:1], v[24:25]
	v_mov_b32_e32 v36, v140
	v_mov_b32_e32 v37, v23
	v_pk_mul_f32 v[20:21], v[20:21], s[14:15] op_sel_hi:[1,0]
	v_pk_add_f32 v[24:25], v[36:37], v[24:25]
	v_pk_fma_f32 v[36:37], v[40:41], s[12:13], v[20:21] op_sel:[0,0,1] op_sel_hi:[1,0,0]
	v_pk_fma_f32 v[20:21], v[40:41], s[12:13], v[20:21] op_sel:[0,0,1] op_sel_hi:[1,0,0] neg_lo:[0,0,1] neg_hi:[0,0,1]
	v_mov_b32_e32 v11, v139
	v_mov_b32_e32 v40, v36
	;; [unrolled: 1-line block ×3, first 2 shown]
	v_pk_mul_f32 v[12:13], v[12:13], s[20:21] op_sel_hi:[1,0]
	v_pk_add_f32 v[10:11], v[0:1], v[10:11]
	v_mov_b32_e32 v23, v141
	v_pk_add_f32 v[24:25], v[40:41], v[24:25]
	v_pk_fma_f32 v[40:41], v[44:45], s[2:3], v[12:13] op_sel:[0,0,1] op_sel_hi:[1,0,0]
	v_pk_fma_f32 v[12:13], v[44:45], s[2:3], v[12:13] op_sel:[0,0,1] op_sel_hi:[1,0,0] neg_lo:[0,0,1] neg_hi:[0,0,1]
	v_pk_add_f32 v[10:11], v[22:23], v[10:11]
	v_mov_b32_e32 v21, v37
	v_mov_b32_e32 v45, v13
	v_pk_add_f32 v[10:11], v[20:21], v[10:11]
	v_mov_b32_e32 v13, v41
	v_mov_b32_e32 v53, v103
	v_pk_add_f32 v[10:11], v[12:13], v[10:11]
	v_pk_add_f32 v[12:13], v[0:1], v[52:53]
	v_mov_b32_e32 v123, v125
	v_mov_b32_e32 v44, v40
	v_pk_mul_f32 v[14:15], v[14:15], s[8:9] op_sel_hi:[1,0]
	v_pk_add_f32 v[12:13], v[122:123], v[12:13]
	v_mov_b32_e32 v127, v129
	v_pk_add_f32 v[24:25], v[44:45], v[24:25]
	v_pk_fma_f32 v[44:45], v[48:49], s[6:7], v[14:15] op_sel:[0,0,1] op_sel_hi:[1,0,0]
	v_pk_fma_f32 v[14:15], v[48:49], s[6:7], v[14:15] op_sel:[0,0,1] op_sel_hi:[1,0,0] neg_lo:[0,0,1] neg_hi:[0,0,1]
	v_pk_add_f32 v[12:13], v[126:127], v[12:13]
	v_mov_b32_e32 v131, v133
	v_mov_b32_e32 v49, v15
	;; [unrolled: 1-line block ×3, first 2 shown]
	v_pk_add_f32 v[12:13], v[130:131], v[12:13]
	v_mov_b32_e32 v135, v137
	v_pk_add_f32 v[10:11], v[14:15], v[10:11]
	v_pk_add_f32 v[12:13], v[134:135], v[12:13]
	v_mov_b32_e32 v71, v101
	v_mov_b32_e32 v3, v35
	;; [unrolled: 1-line block ×3, first 2 shown]
	ds_write2_b64 v75, v[10:11], v[12:13] offset0:30 offset1:195
	v_pk_add_f32 v[10:11], v[0:1], v[70:71]
	v_mov_b32_e32 v105, v107
	v_pk_add_f32 v[2:3], v[0:1], v[2:3]
	v_mov_b32_e32 v55, v57
	;; [unrolled: 2-line block ×9, first 2 shown]
	v_mov_b32_e32 v48, v44
	v_pk_add_f32 v[10:11], v[112:113], v[10:11]
	v_mov_b32_e32 v117, v119
	v_pk_add_f32 v[2:3], v[62:63], v[2:3]
	;; [unrolled: 2-line block ×4, first 2 shown]
	v_pk_add_f32 v[10:11], v[116:117], v[10:11]
	v_pk_add_f32 v[2:3], v[66:67], v[2:3]
	;; [unrolled: 1-line block ×3, first 2 shown]
	ds_write2_b64 v73, v[120:121], v[24:25] offset0:20 offset1:185
	ds_write2_b64 v8, v[10:11], v[2:3] offset0:40 offset1:205
	ds_write_b64 v72, v[0:1] offset:13200
	s_waitcnt lgkmcnt(0)
	s_barrier
	ds_read2_b64 v[0:3], v72 offset1:165
	v_mov_b32_e32 v10, v7
	v_mad_u64_u32 v[10:11], s[0:1], s7, v82, v[10:11]
	v_mov_b32_e32 v7, v10
	s_waitcnt lgkmcnt(0)
	v_mul_f32_e32 v10, v99, v1
	v_fmac_f32_e32 v10, v98, v0
	v_mul_f32_e32 v0, v99, v0
	s_mov_b32 s0, 0x953a4099
	v_fma_f32 v0, v98, v1, -v0
	v_cvt_f64_f32_e32 v[10:11], v10
	s_mov_b32 s1, 0x3f420dd2
	v_cvt_f64_f32_e32 v[0:1], v0
	v_mul_f64 v[10:11], v[10:11], s[0:1]
	v_mul_f64 v[0:1], v[0:1], s[0:1]
	v_cvt_f32_f64_e32 v10, v[10:11]
	v_cvt_f32_f64_e32 v11, v[0:1]
	v_mad_u64_u32 v[0:1], s[2:3], s4, v74, 0
	v_mov_b32_e32 v12, v1
	v_mad_u64_u32 v[12:13], s[2:3], s5, v74, v[12:13]
	v_mov_b32_e32 v1, v12
	v_lshl_add_u64 v[4:5], v[6:7], 3, v[4:5]
	v_lshl_add_u64 v[4:5], v[0:1], 3, v[4:5]
	v_mul_f32_e32 v0, v97, v3
	v_fmac_f32_e32 v0, v96, v2
	v_cvt_f64_f32_e32 v[0:1], v0
	v_mul_f64 v[0:1], v[0:1], s[0:1]
	v_cvt_f32_f64_e32 v6, v[0:1]
	v_mul_f32_e32 v0, v97, v2
	v_fma_f32 v0, v96, v3, -v0
	v_cvt_f64_f32_e32 v[0:1], v0
	v_mul_f64 v[0:1], v[0:1], s[0:1]
	v_cvt_f32_f64_e32 v7, v[0:1]
	ds_read2_b64 v[0:3], v9 offset0:74 offset1:239
	global_store_dwordx2 v[4:5], v[10:11], off
	v_mov_b32_e32 v10, 0x528
	v_mad_u64_u32 v[4:5], s[2:3], s4, v10, v[4:5]
	s_mulk_i32 s5, 0x528
	v_add_u32_e32 v5, s5, v5
	global_store_dwordx2 v[4:5], v[6:7], off
	s_waitcnt lgkmcnt(0)
	v_mul_f32_e32 v6, v93, v1
	v_fmac_f32_e32 v6, v92, v0
	v_mul_f32_e32 v0, v93, v0
	v_fma_f32 v0, v92, v1, -v0
	v_cvt_f64_f32_e32 v[6:7], v6
	v_cvt_f64_f32_e32 v[0:1], v0
	v_mul_f64 v[6:7], v[6:7], s[0:1]
	v_mul_f64 v[0:1], v[0:1], s[0:1]
	v_cvt_f32_f64_e32 v6, v[6:7]
	v_cvt_f32_f64_e32 v7, v[0:1]
	v_mul_f32_e32 v0, v89, v3
	v_fmac_f32_e32 v0, v88, v2
	v_mad_u64_u32 v[4:5], s[2:3], s4, v10, v[4:5]
	v_cvt_f64_f32_e32 v[0:1], v0
	v_add_u32_e32 v5, s5, v5
	v_mul_f64 v[0:1], v[0:1], s[0:1]
	global_store_dwordx2 v[4:5], v[6:7], off
	v_cvt_f32_f64_e32 v6, v[0:1]
	v_mul_f32_e32 v0, v89, v2
	v_fma_f32 v0, v88, v3, -v0
	v_cvt_f64_f32_e32 v[0:1], v0
	v_mul_f64 v[0:1], v[0:1], s[0:1]
	v_cvt_f32_f64_e32 v7, v[0:1]
	ds_read2_b64 v[0:3], v73 offset0:20 offset1:185
	v_mad_u64_u32 v[4:5], s[2:3], s4, v10, v[4:5]
	v_add_u32_e32 v5, s5, v5
	global_store_dwordx2 v[4:5], v[6:7], off
	s_waitcnt lgkmcnt(0)
	v_mul_f32_e32 v6, v95, v1
	v_fmac_f32_e32 v6, v94, v0
	v_mul_f32_e32 v0, v95, v0
	v_fma_f32 v0, v94, v1, -v0
	v_cvt_f64_f32_e32 v[6:7], v6
	v_cvt_f64_f32_e32 v[0:1], v0
	v_mul_f64 v[6:7], v[6:7], s[0:1]
	v_mul_f64 v[0:1], v[0:1], s[0:1]
	v_cvt_f32_f64_e32 v6, v[6:7]
	v_cvt_f32_f64_e32 v7, v[0:1]
	v_mul_f32_e32 v0, v87, v3
	v_fmac_f32_e32 v0, v86, v2
	v_mad_u64_u32 v[4:5], s[2:3], s4, v10, v[4:5]
	v_cvt_f64_f32_e32 v[0:1], v0
	v_add_u32_e32 v5, s5, v5
	v_mul_f64 v[0:1], v[0:1], s[0:1]
	global_store_dwordx2 v[4:5], v[6:7], off
	v_cvt_f32_f64_e32 v6, v[0:1]
	v_mul_f32_e32 v0, v87, v2
	v_fma_f32 v0, v86, v3, -v0
	v_cvt_f64_f32_e32 v[0:1], v0
	v_mul_f64 v[0:1], v[0:1], s[0:1]
	v_cvt_f32_f64_e32 v7, v[0:1]
	ds_read2_b64 v[0:3], v75 offset0:30 offset1:195
	v_mad_u64_u32 v[4:5], s[2:3], s4, v10, v[4:5]
	;; [unrolled: 28-line block ×3, first 2 shown]
	v_add_u32_e32 v5, s5, v5
	global_store_dwordx2 v[4:5], v[6:7], off
	s_waitcnt lgkmcnt(0)
	v_mul_f32_e32 v6, v85, v1
	v_fmac_f32_e32 v6, v84, v0
	v_mul_f32_e32 v0, v85, v0
	v_fma_f32 v0, v84, v1, -v0
	v_cvt_f64_f32_e32 v[6:7], v6
	v_cvt_f64_f32_e32 v[0:1], v0
	v_mul_f64 v[6:7], v[6:7], s[0:1]
	v_mul_f64 v[0:1], v[0:1], s[0:1]
	v_cvt_f32_f64_e32 v6, v[6:7]
	v_cvt_f32_f64_e32 v7, v[0:1]
	v_mad_u64_u32 v[0:1], s[2:3], s4, v10, v[4:5]
	v_mul_f32_e32 v4, v79, v3
	v_fmac_f32_e32 v4, v78, v2
	v_mul_f32_e32 v2, v79, v2
	v_fma_f32 v2, v78, v3, -v2
	v_cvt_f64_f32_e32 v[4:5], v4
	v_cvt_f64_f32_e32 v[2:3], v2
	v_mul_f64 v[4:5], v[4:5], s[0:1]
	v_mul_f64 v[2:3], v[2:3], s[0:1]
	v_cvt_f32_f64_e32 v4, v[4:5]
	v_cvt_f32_f64_e32 v5, v[2:3]
	ds_read_b64 v[2:3], v72 offset:13200
	v_add_u32_e32 v1, s5, v1
	global_store_dwordx2 v[0:1], v[6:7], off
	v_mad_u64_u32 v[0:1], s[2:3], s4, v10, v[0:1]
	v_add_u32_e32 v1, s5, v1
	global_store_dwordx2 v[0:1], v[4:5], off
	s_waitcnt lgkmcnt(0)
	v_mul_f32_e32 v4, v77, v3
	v_fmac_f32_e32 v4, v76, v2
	v_mul_f32_e32 v2, v77, v2
	v_fma_f32 v2, v76, v3, -v2
	v_cvt_f64_f32_e32 v[4:5], v4
	v_cvt_f64_f32_e32 v[2:3], v2
	v_mul_f64 v[4:5], v[4:5], s[0:1]
	v_mul_f64 v[2:3], v[2:3], s[0:1]
	v_mad_u64_u32 v[0:1], s[0:1], s4, v10, v[0:1]
	v_cvt_f32_f64_e32 v4, v[4:5]
	v_cvt_f32_f64_e32 v5, v[2:3]
	v_add_u32_e32 v1, s5, v1
	global_store_dwordx2 v[0:1], v[4:5], off
.LBB0_18:
	s_endpgm
	.section	.rodata,"a",@progbits
	.p2align	6, 0x0
	.amdhsa_kernel bluestein_single_fwd_len1815_dim1_sp_op_CI_CI
		.amdhsa_group_segment_fixed_size 14520
		.amdhsa_private_segment_fixed_size 0
		.amdhsa_kernarg_size 104
		.amdhsa_user_sgpr_count 2
		.amdhsa_user_sgpr_dispatch_ptr 0
		.amdhsa_user_sgpr_queue_ptr 0
		.amdhsa_user_sgpr_kernarg_segment_ptr 1
		.amdhsa_user_sgpr_dispatch_id 0
		.amdhsa_user_sgpr_kernarg_preload_length 0
		.amdhsa_user_sgpr_kernarg_preload_offset 0
		.amdhsa_user_sgpr_private_segment_size 0
		.amdhsa_uses_dynamic_stack 0
		.amdhsa_enable_private_segment 0
		.amdhsa_system_sgpr_workgroup_id_x 1
		.amdhsa_system_sgpr_workgroup_id_y 0
		.amdhsa_system_sgpr_workgroup_id_z 0
		.amdhsa_system_sgpr_workgroup_info 0
		.amdhsa_system_vgpr_workitem_id 0
		.amdhsa_next_free_vgpr 228
		.amdhsa_next_free_sgpr 48
		.amdhsa_accum_offset 228
		.amdhsa_reserve_vcc 1
		.amdhsa_float_round_mode_32 0
		.amdhsa_float_round_mode_16_64 0
		.amdhsa_float_denorm_mode_32 3
		.amdhsa_float_denorm_mode_16_64 3
		.amdhsa_dx10_clamp 1
		.amdhsa_ieee_mode 1
		.amdhsa_fp16_overflow 0
		.amdhsa_tg_split 0
		.amdhsa_exception_fp_ieee_invalid_op 0
		.amdhsa_exception_fp_denorm_src 0
		.amdhsa_exception_fp_ieee_div_zero 0
		.amdhsa_exception_fp_ieee_overflow 0
		.amdhsa_exception_fp_ieee_underflow 0
		.amdhsa_exception_fp_ieee_inexact 0
		.amdhsa_exception_int_div_zero 0
	.end_amdhsa_kernel
	.text
.Lfunc_end0:
	.size	bluestein_single_fwd_len1815_dim1_sp_op_CI_CI, .Lfunc_end0-bluestein_single_fwd_len1815_dim1_sp_op_CI_CI
                                        ; -- End function
	.section	.AMDGPU.csdata,"",@progbits
; Kernel info:
; codeLenInByte = 15396
; NumSgprs: 54
; NumVgprs: 228
; NumAgprs: 0
; TotalNumVgprs: 228
; ScratchSize: 0
; MemoryBound: 0
; FloatMode: 240
; IeeeMode: 1
; LDSByteSize: 14520 bytes/workgroup (compile time only)
; SGPRBlocks: 6
; VGPRBlocks: 28
; NumSGPRsForWavesPerEU: 54
; NumVGPRsForWavesPerEU: 228
; AccumOffset: 228
; Occupancy: 2
; WaveLimiterHint : 1
; COMPUTE_PGM_RSRC2:SCRATCH_EN: 0
; COMPUTE_PGM_RSRC2:USER_SGPR: 2
; COMPUTE_PGM_RSRC2:TRAP_HANDLER: 0
; COMPUTE_PGM_RSRC2:TGID_X_EN: 1
; COMPUTE_PGM_RSRC2:TGID_Y_EN: 0
; COMPUTE_PGM_RSRC2:TGID_Z_EN: 0
; COMPUTE_PGM_RSRC2:TIDIG_COMP_CNT: 0
; COMPUTE_PGM_RSRC3_GFX90A:ACCUM_OFFSET: 56
; COMPUTE_PGM_RSRC3_GFX90A:TG_SPLIT: 0
	.text
	.p2alignl 6, 3212836864
	.fill 256, 4, 3212836864
	.type	__hip_cuid_ee2ddff362edafa4,@object ; @__hip_cuid_ee2ddff362edafa4
	.section	.bss,"aw",@nobits
	.globl	__hip_cuid_ee2ddff362edafa4
__hip_cuid_ee2ddff362edafa4:
	.byte	0                               ; 0x0
	.size	__hip_cuid_ee2ddff362edafa4, 1

	.ident	"AMD clang version 19.0.0git (https://github.com/RadeonOpenCompute/llvm-project roc-6.4.0 25133 c7fe45cf4b819c5991fe208aaa96edf142730f1d)"
	.section	".note.GNU-stack","",@progbits
	.addrsig
	.addrsig_sym __hip_cuid_ee2ddff362edafa4
	.amdgpu_metadata
---
amdhsa.kernels:
  - .agpr_count:     0
    .args:
      - .actual_access:  read_only
        .address_space:  global
        .offset:         0
        .size:           8
        .value_kind:     global_buffer
      - .actual_access:  read_only
        .address_space:  global
        .offset:         8
        .size:           8
        .value_kind:     global_buffer
      - .actual_access:  read_only
        .address_space:  global
        .offset:         16
        .size:           8
        .value_kind:     global_buffer
      - .actual_access:  read_only
        .address_space:  global
        .offset:         24
        .size:           8
        .value_kind:     global_buffer
      - .actual_access:  read_only
        .address_space:  global
        .offset:         32
        .size:           8
        .value_kind:     global_buffer
      - .offset:         40
        .size:           8
        .value_kind:     by_value
      - .address_space:  global
        .offset:         48
        .size:           8
        .value_kind:     global_buffer
      - .address_space:  global
        .offset:         56
        .size:           8
        .value_kind:     global_buffer
      - .address_space:  global
        .offset:         64
        .size:           8
        .value_kind:     global_buffer
      - .address_space:  global
        .offset:         72
        .size:           8
        .value_kind:     global_buffer
      - .offset:         80
        .size:           4
        .value_kind:     by_value
      - .address_space:  global
        .offset:         88
        .size:           8
        .value_kind:     global_buffer
      - .address_space:  global
        .offset:         96
        .size:           8
        .value_kind:     global_buffer
    .group_segment_fixed_size: 14520
    .kernarg_segment_align: 8
    .kernarg_segment_size: 104
    .language:       OpenCL C
    .language_version:
      - 2
      - 0
    .max_flat_workgroup_size: 165
    .name:           bluestein_single_fwd_len1815_dim1_sp_op_CI_CI
    .private_segment_fixed_size: 0
    .sgpr_count:     54
    .sgpr_spill_count: 0
    .symbol:         bluestein_single_fwd_len1815_dim1_sp_op_CI_CI.kd
    .uniform_work_group_size: 1
    .uses_dynamic_stack: false
    .vgpr_count:     228
    .vgpr_spill_count: 0
    .wavefront_size: 64
amdhsa.target:   amdgcn-amd-amdhsa--gfx950
amdhsa.version:
  - 1
  - 2
...

	.end_amdgpu_metadata
